;; amdgpu-corpus repo=ROCm/rocFFT kind=compiled arch=gfx1100 opt=O3
	.text
	.amdgcn_target "amdgcn-amd-amdhsa--gfx1100"
	.amdhsa_code_object_version 6
	.protected	fft_rtc_back_len1456_factors_13_4_7_2_2_wgs_182_tpt_182_halfLds_dp_op_CI_CI_unitstride_sbrr_R2C_dirReg ; -- Begin function fft_rtc_back_len1456_factors_13_4_7_2_2_wgs_182_tpt_182_halfLds_dp_op_CI_CI_unitstride_sbrr_R2C_dirReg
	.globl	fft_rtc_back_len1456_factors_13_4_7_2_2_wgs_182_tpt_182_halfLds_dp_op_CI_CI_unitstride_sbrr_R2C_dirReg
	.p2align	8
	.type	fft_rtc_back_len1456_factors_13_4_7_2_2_wgs_182_tpt_182_halfLds_dp_op_CI_CI_unitstride_sbrr_R2C_dirReg,@function
fft_rtc_back_len1456_factors_13_4_7_2_2_wgs_182_tpt_182_halfLds_dp_op_CI_CI_unitstride_sbrr_R2C_dirReg: ; @fft_rtc_back_len1456_factors_13_4_7_2_2_wgs_182_tpt_182_halfLds_dp_op_CI_CI_unitstride_sbrr_R2C_dirReg
; %bb.0:
	s_clause 0x2
	s_load_b128 s[8:11], s[0:1], 0x0
	s_load_b128 s[4:7], s[0:1], 0x58
	;; [unrolled: 1-line block ×3, first 2 shown]
	v_mul_u32_u24_e32 v1, 0x169, v0
	v_mov_b32_e32 v3, 0
	s_delay_alu instid0(VALU_DEP_2) | instskip(NEXT) | instid1(VALU_DEP_1)
	v_lshrrev_b32_e32 v1, 16, v1
	v_add_nc_u32_e32 v5, s15, v1
	v_mov_b32_e32 v1, 0
	v_mov_b32_e32 v2, 0
	;; [unrolled: 1-line block ×3, first 2 shown]
	s_waitcnt lgkmcnt(0)
	v_cmp_lt_u64_e64 s2, s[10:11], 2
	s_delay_alu instid0(VALU_DEP_1)
	s_and_b32 vcc_lo, exec_lo, s2
	s_cbranch_vccnz .LBB0_8
; %bb.1:
	s_load_b64 s[2:3], s[0:1], 0x10
	v_mov_b32_e32 v1, 0
	v_mov_b32_e32 v2, 0
	s_add_u32 s12, s18, 8
	s_addc_u32 s13, s19, 0
	s_add_u32 s14, s16, 8
	s_addc_u32 s15, s17, 0
	v_dual_mov_b32 v73, v2 :: v_dual_mov_b32 v72, v1
	s_mov_b64 s[22:23], 1
	s_waitcnt lgkmcnt(0)
	s_add_u32 s20, s2, 8
	s_addc_u32 s21, s3, 0
.LBB0_2:                                ; =>This Inner Loop Header: Depth=1
	s_load_b64 s[24:25], s[20:21], 0x0
                                        ; implicit-def: $vgpr74_vgpr75
	s_mov_b32 s2, exec_lo
	s_waitcnt lgkmcnt(0)
	v_or_b32_e32 v4, s25, v6
	s_delay_alu instid0(VALU_DEP_1)
	v_cmpx_ne_u64_e32 0, v[3:4]
	s_xor_b32 s3, exec_lo, s2
	s_cbranch_execz .LBB0_4
; %bb.3:                                ;   in Loop: Header=BB0_2 Depth=1
	v_cvt_f32_u32_e32 v4, s24
	v_cvt_f32_u32_e32 v7, s25
	s_sub_u32 s2, 0, s24
	s_subb_u32 s26, 0, s25
	s_delay_alu instid0(VALU_DEP_1) | instskip(NEXT) | instid1(VALU_DEP_1)
	v_fmac_f32_e32 v4, 0x4f800000, v7
	v_rcp_f32_e32 v4, v4
	s_waitcnt_depctr 0xfff
	v_mul_f32_e32 v4, 0x5f7ffffc, v4
	s_delay_alu instid0(VALU_DEP_1) | instskip(NEXT) | instid1(VALU_DEP_1)
	v_mul_f32_e32 v7, 0x2f800000, v4
	v_trunc_f32_e32 v7, v7
	s_delay_alu instid0(VALU_DEP_1) | instskip(SKIP_1) | instid1(VALU_DEP_2)
	v_fmac_f32_e32 v4, 0xcf800000, v7
	v_cvt_u32_f32_e32 v7, v7
	v_cvt_u32_f32_e32 v4, v4
	s_delay_alu instid0(VALU_DEP_2) | instskip(NEXT) | instid1(VALU_DEP_2)
	v_mul_lo_u32 v8, s2, v7
	v_mul_hi_u32 v9, s2, v4
	v_mul_lo_u32 v10, s26, v4
	s_delay_alu instid0(VALU_DEP_2) | instskip(SKIP_1) | instid1(VALU_DEP_2)
	v_add_nc_u32_e32 v8, v9, v8
	v_mul_lo_u32 v9, s2, v4
	v_add_nc_u32_e32 v8, v8, v10
	s_delay_alu instid0(VALU_DEP_2) | instskip(NEXT) | instid1(VALU_DEP_2)
	v_mul_hi_u32 v10, v4, v9
	v_mul_lo_u32 v11, v4, v8
	v_mul_hi_u32 v12, v4, v8
	v_mul_hi_u32 v13, v7, v9
	v_mul_lo_u32 v9, v7, v9
	v_mul_hi_u32 v14, v7, v8
	v_mul_lo_u32 v8, v7, v8
	v_add_co_u32 v10, vcc_lo, v10, v11
	v_add_co_ci_u32_e32 v11, vcc_lo, 0, v12, vcc_lo
	s_delay_alu instid0(VALU_DEP_2) | instskip(NEXT) | instid1(VALU_DEP_2)
	v_add_co_u32 v9, vcc_lo, v10, v9
	v_add_co_ci_u32_e32 v9, vcc_lo, v11, v13, vcc_lo
	v_add_co_ci_u32_e32 v10, vcc_lo, 0, v14, vcc_lo
	s_delay_alu instid0(VALU_DEP_2) | instskip(NEXT) | instid1(VALU_DEP_2)
	v_add_co_u32 v8, vcc_lo, v9, v8
	v_add_co_ci_u32_e32 v9, vcc_lo, 0, v10, vcc_lo
	s_delay_alu instid0(VALU_DEP_2) | instskip(NEXT) | instid1(VALU_DEP_2)
	v_add_co_u32 v4, vcc_lo, v4, v8
	v_add_co_ci_u32_e32 v7, vcc_lo, v7, v9, vcc_lo
	s_delay_alu instid0(VALU_DEP_2) | instskip(SKIP_1) | instid1(VALU_DEP_3)
	v_mul_hi_u32 v8, s2, v4
	v_mul_lo_u32 v10, s26, v4
	v_mul_lo_u32 v9, s2, v7
	s_delay_alu instid0(VALU_DEP_1) | instskip(SKIP_1) | instid1(VALU_DEP_2)
	v_add_nc_u32_e32 v8, v8, v9
	v_mul_lo_u32 v9, s2, v4
	v_add_nc_u32_e32 v8, v8, v10
	s_delay_alu instid0(VALU_DEP_2) | instskip(NEXT) | instid1(VALU_DEP_2)
	v_mul_hi_u32 v10, v4, v9
	v_mul_lo_u32 v11, v4, v8
	v_mul_hi_u32 v12, v4, v8
	v_mul_hi_u32 v13, v7, v9
	v_mul_lo_u32 v9, v7, v9
	v_mul_hi_u32 v14, v7, v8
	v_mul_lo_u32 v8, v7, v8
	v_add_co_u32 v10, vcc_lo, v10, v11
	v_add_co_ci_u32_e32 v11, vcc_lo, 0, v12, vcc_lo
	s_delay_alu instid0(VALU_DEP_2) | instskip(NEXT) | instid1(VALU_DEP_2)
	v_add_co_u32 v9, vcc_lo, v10, v9
	v_add_co_ci_u32_e32 v9, vcc_lo, v11, v13, vcc_lo
	v_add_co_ci_u32_e32 v10, vcc_lo, 0, v14, vcc_lo
	s_delay_alu instid0(VALU_DEP_2) | instskip(NEXT) | instid1(VALU_DEP_2)
	v_add_co_u32 v8, vcc_lo, v9, v8
	v_add_co_ci_u32_e32 v9, vcc_lo, 0, v10, vcc_lo
	s_delay_alu instid0(VALU_DEP_2) | instskip(NEXT) | instid1(VALU_DEP_2)
	v_add_co_u32 v4, vcc_lo, v4, v8
	v_add_co_ci_u32_e32 v13, vcc_lo, v7, v9, vcc_lo
	s_delay_alu instid0(VALU_DEP_2) | instskip(SKIP_1) | instid1(VALU_DEP_3)
	v_mul_hi_u32 v14, v5, v4
	v_mad_u64_u32 v[9:10], null, v6, v4, 0
	v_mad_u64_u32 v[7:8], null, v5, v13, 0
	;; [unrolled: 1-line block ×3, first 2 shown]
	s_delay_alu instid0(VALU_DEP_2) | instskip(NEXT) | instid1(VALU_DEP_3)
	v_add_co_u32 v4, vcc_lo, v14, v7
	v_add_co_ci_u32_e32 v7, vcc_lo, 0, v8, vcc_lo
	s_delay_alu instid0(VALU_DEP_2) | instskip(NEXT) | instid1(VALU_DEP_2)
	v_add_co_u32 v4, vcc_lo, v4, v9
	v_add_co_ci_u32_e32 v4, vcc_lo, v7, v10, vcc_lo
	v_add_co_ci_u32_e32 v7, vcc_lo, 0, v12, vcc_lo
	s_delay_alu instid0(VALU_DEP_2) | instskip(NEXT) | instid1(VALU_DEP_2)
	v_add_co_u32 v4, vcc_lo, v4, v11
	v_add_co_ci_u32_e32 v9, vcc_lo, 0, v7, vcc_lo
	s_delay_alu instid0(VALU_DEP_2) | instskip(SKIP_1) | instid1(VALU_DEP_3)
	v_mul_lo_u32 v10, s25, v4
	v_mad_u64_u32 v[7:8], null, s24, v4, 0
	v_mul_lo_u32 v11, s24, v9
	s_delay_alu instid0(VALU_DEP_2) | instskip(NEXT) | instid1(VALU_DEP_2)
	v_sub_co_u32 v7, vcc_lo, v5, v7
	v_add3_u32 v8, v8, v11, v10
	s_delay_alu instid0(VALU_DEP_1) | instskip(NEXT) | instid1(VALU_DEP_1)
	v_sub_nc_u32_e32 v10, v6, v8
	v_subrev_co_ci_u32_e64 v10, s2, s25, v10, vcc_lo
	v_add_co_u32 v11, s2, v4, 2
	s_delay_alu instid0(VALU_DEP_1) | instskip(SKIP_3) | instid1(VALU_DEP_3)
	v_add_co_ci_u32_e64 v12, s2, 0, v9, s2
	v_sub_co_u32 v13, s2, v7, s24
	v_sub_co_ci_u32_e32 v8, vcc_lo, v6, v8, vcc_lo
	v_subrev_co_ci_u32_e64 v10, s2, 0, v10, s2
	v_cmp_le_u32_e32 vcc_lo, s24, v13
	s_delay_alu instid0(VALU_DEP_3) | instskip(SKIP_1) | instid1(VALU_DEP_4)
	v_cmp_eq_u32_e64 s2, s25, v8
	v_cndmask_b32_e64 v13, 0, -1, vcc_lo
	v_cmp_le_u32_e32 vcc_lo, s25, v10
	v_cndmask_b32_e64 v14, 0, -1, vcc_lo
	v_cmp_le_u32_e32 vcc_lo, s24, v7
	;; [unrolled: 2-line block ×3, first 2 shown]
	v_cndmask_b32_e64 v15, 0, -1, vcc_lo
	v_cmp_eq_u32_e32 vcc_lo, s25, v10
	s_delay_alu instid0(VALU_DEP_2) | instskip(SKIP_3) | instid1(VALU_DEP_3)
	v_cndmask_b32_e64 v7, v15, v7, s2
	v_cndmask_b32_e32 v10, v14, v13, vcc_lo
	v_add_co_u32 v13, vcc_lo, v4, 1
	v_add_co_ci_u32_e32 v14, vcc_lo, 0, v9, vcc_lo
	v_cmp_ne_u32_e32 vcc_lo, 0, v10
	s_delay_alu instid0(VALU_DEP_2) | instskip(NEXT) | instid1(VALU_DEP_4)
	v_cndmask_b32_e32 v8, v14, v12, vcc_lo
	v_cndmask_b32_e32 v10, v13, v11, vcc_lo
	v_cmp_ne_u32_e32 vcc_lo, 0, v7
	s_delay_alu instid0(VALU_DEP_2)
	v_dual_cndmask_b32 v75, v9, v8 :: v_dual_cndmask_b32 v74, v4, v10
.LBB0_4:                                ;   in Loop: Header=BB0_2 Depth=1
	s_and_not1_saveexec_b32 s2, s3
	s_cbranch_execz .LBB0_6
; %bb.5:                                ;   in Loop: Header=BB0_2 Depth=1
	v_cvt_f32_u32_e32 v4, s24
	s_sub_i32 s3, 0, s24
	v_mov_b32_e32 v75, v3
	s_delay_alu instid0(VALU_DEP_2) | instskip(SKIP_2) | instid1(VALU_DEP_1)
	v_rcp_iflag_f32_e32 v4, v4
	s_waitcnt_depctr 0xfff
	v_mul_f32_e32 v4, 0x4f7ffffe, v4
	v_cvt_u32_f32_e32 v4, v4
	s_delay_alu instid0(VALU_DEP_1) | instskip(NEXT) | instid1(VALU_DEP_1)
	v_mul_lo_u32 v7, s3, v4
	v_mul_hi_u32 v7, v4, v7
	s_delay_alu instid0(VALU_DEP_1) | instskip(NEXT) | instid1(VALU_DEP_1)
	v_add_nc_u32_e32 v4, v4, v7
	v_mul_hi_u32 v4, v5, v4
	s_delay_alu instid0(VALU_DEP_1) | instskip(SKIP_1) | instid1(VALU_DEP_2)
	v_mul_lo_u32 v7, v4, s24
	v_add_nc_u32_e32 v8, 1, v4
	v_sub_nc_u32_e32 v7, v5, v7
	s_delay_alu instid0(VALU_DEP_1) | instskip(SKIP_1) | instid1(VALU_DEP_2)
	v_subrev_nc_u32_e32 v9, s24, v7
	v_cmp_le_u32_e32 vcc_lo, s24, v7
	v_dual_cndmask_b32 v7, v7, v9 :: v_dual_cndmask_b32 v4, v4, v8
	s_delay_alu instid0(VALU_DEP_1) | instskip(NEXT) | instid1(VALU_DEP_2)
	v_cmp_le_u32_e32 vcc_lo, s24, v7
	v_add_nc_u32_e32 v8, 1, v4
	s_delay_alu instid0(VALU_DEP_1)
	v_cndmask_b32_e32 v74, v4, v8, vcc_lo
.LBB0_6:                                ;   in Loop: Header=BB0_2 Depth=1
	s_or_b32 exec_lo, exec_lo, s2
	s_delay_alu instid0(VALU_DEP_1) | instskip(NEXT) | instid1(VALU_DEP_2)
	v_mul_lo_u32 v4, v75, s24
	v_mul_lo_u32 v9, v74, s25
	s_load_b64 s[2:3], s[14:15], 0x0
	v_mad_u64_u32 v[7:8], null, v74, s24, 0
	s_load_b64 s[24:25], s[12:13], 0x0
	s_add_u32 s22, s22, 1
	s_addc_u32 s23, s23, 0
	s_add_u32 s12, s12, 8
	s_addc_u32 s13, s13, 0
	s_add_u32 s14, s14, 8
	s_delay_alu instid0(VALU_DEP_1) | instskip(SKIP_3) | instid1(VALU_DEP_2)
	v_add3_u32 v4, v8, v9, v4
	v_sub_co_u32 v8, vcc_lo, v5, v7
	s_addc_u32 s15, s15, 0
	s_add_u32 s20, s20, 8
	v_sub_co_ci_u32_e32 v6, vcc_lo, v6, v4, vcc_lo
	s_addc_u32 s21, s21, 0
	s_waitcnt lgkmcnt(0)
	s_delay_alu instid0(VALU_DEP_1)
	v_mul_lo_u32 v9, s2, v6
	v_mul_lo_u32 v10, s3, v8
	v_mad_u64_u32 v[4:5], null, s2, v8, v[1:2]
	v_mul_lo_u32 v11, s24, v6
	v_mul_lo_u32 v12, s25, v8
	v_mad_u64_u32 v[6:7], null, s24, v8, v[72:73]
	v_cmp_ge_u64_e64 s2, s[22:23], s[10:11]
	v_add3_u32 v2, v10, v5, v9
	s_delay_alu instid0(VALU_DEP_3) | instskip(NEXT) | instid1(VALU_DEP_4)
	v_dual_mov_b32 v1, v4 :: v_dual_mov_b32 v72, v6
	v_add3_u32 v73, v12, v7, v11
	s_delay_alu instid0(VALU_DEP_4)
	s_and_b32 vcc_lo, exec_lo, s2
	s_cbranch_vccnz .LBB0_9
; %bb.7:                                ;   in Loop: Header=BB0_2 Depth=1
	v_dual_mov_b32 v5, v74 :: v_dual_mov_b32 v6, v75
	s_branch .LBB0_2
.LBB0_8:
	v_dual_mov_b32 v73, v2 :: v_dual_mov_b32 v72, v1
	v_dual_mov_b32 v75, v6 :: v_dual_mov_b32 v74, v5
.LBB0_9:
	s_load_b64 s[0:1], s[0:1], 0x28
	v_mul_hi_u32 v3, 0x1681682, v0
	s_lshl_b64 s[10:11], s[10:11], 3
                                        ; implicit-def: $vgpr76
	s_delay_alu instid0(SALU_CYCLE_1) | instskip(SKIP_4) | instid1(VALU_DEP_1)
	s_add_u32 s2, s18, s10
	s_addc_u32 s3, s19, s11
	s_waitcnt lgkmcnt(0)
	v_cmp_gt_u64_e32 vcc_lo, s[0:1], v[74:75]
	v_cmp_le_u64_e64 s0, s[0:1], v[74:75]
	s_and_saveexec_b32 s1, s0
	s_delay_alu instid0(SALU_CYCLE_1)
	s_xor_b32 s0, exec_lo, s1
; %bb.10:
	v_mul_u32_u24_e32 v1, 0xb6, v3
                                        ; implicit-def: $vgpr3
	s_delay_alu instid0(VALU_DEP_1)
	v_sub_nc_u32_e32 v76, v0, v1
                                        ; implicit-def: $vgpr0
                                        ; implicit-def: $vgpr1_vgpr2
; %bb.11:
	s_and_not1_saveexec_b32 s1, s0
	s_cbranch_execz .LBB0_13
; %bb.12:
	s_add_u32 s10, s16, s10
	s_addc_u32 s11, s17, s11
	v_lshlrev_b64 v[1:2], 4, v[1:2]
	s_load_b64 s[10:11], s[10:11], 0x0
	s_waitcnt lgkmcnt(0)
	v_mul_lo_u32 v6, s11, v74
	v_mul_lo_u32 v7, s10, v75
	v_mad_u64_u32 v[4:5], null, s10, v74, 0
	s_delay_alu instid0(VALU_DEP_1) | instskip(SKIP_1) | instid1(VALU_DEP_2)
	v_add3_u32 v5, v5, v7, v6
	v_mul_u32_u24_e32 v6, 0xb6, v3
	v_lshlrev_b64 v[3:4], 4, v[4:5]
	s_delay_alu instid0(VALU_DEP_2) | instskip(NEXT) | instid1(VALU_DEP_1)
	v_sub_nc_u32_e32 v76, v0, v6
	v_lshlrev_b32_e32 v32, 4, v76
	s_delay_alu instid0(VALU_DEP_3) | instskip(NEXT) | instid1(VALU_DEP_1)
	v_add_co_u32 v0, s0, s4, v3
	v_add_co_ci_u32_e64 v3, s0, s5, v4, s0
	s_delay_alu instid0(VALU_DEP_2) | instskip(NEXT) | instid1(VALU_DEP_1)
	v_add_co_u32 v0, s0, v0, v1
	v_add_co_ci_u32_e64 v1, s0, v3, v2, s0
	s_delay_alu instid0(VALU_DEP_2) | instskip(NEXT) | instid1(VALU_DEP_1)
	v_add_co_u32 v8, s0, v0, v32
	v_add_co_ci_u32_e64 v9, s0, 0, v1, s0
	s_clause 0x1
	global_load_b128 v[0:3], v[8:9], off
	global_load_b128 v[4:7], v[8:9], off offset:2912
	v_add_co_u32 v10, s0, 0x1000, v8
	s_delay_alu instid0(VALU_DEP_1) | instskip(SKIP_1) | instid1(VALU_DEP_1)
	v_add_co_ci_u32_e64 v11, s0, 0, v9, s0
	v_add_co_u32 v16, s0, 0x2000, v8
	v_add_co_ci_u32_e64 v17, s0, 0, v9, s0
	v_add_co_u32 v20, s0, 0x3000, v8
	s_delay_alu instid0(VALU_DEP_1) | instskip(SKIP_1) | instid1(VALU_DEP_1)
	v_add_co_ci_u32_e64 v21, s0, 0, v9, s0
	v_add_co_u32 v28, s0, 0x4000, v8
	v_add_co_ci_u32_e64 v29, s0, 0, v9, s0
	s_clause 0x5
	global_load_b128 v[8:11], v[10:11], off offset:1728
	global_load_b128 v[12:15], v[16:17], off offset:544
	;; [unrolled: 1-line block ×6, first 2 shown]
	v_add_nc_u32_e32 v32, 0, v32
	s_waitcnt vmcnt(7)
	ds_store_b128 v32, v[0:3]
	s_waitcnt vmcnt(6)
	ds_store_b128 v32, v[4:7] offset:2912
	s_waitcnt vmcnt(5)
	ds_store_b128 v32, v[8:11] offset:5824
	;; [unrolled: 2-line block ×7, first 2 shown]
.LBB0_13:
	s_or_b32 exec_lo, exec_lo, s1
	s_delay_alu instid0(VALU_DEP_1)
	v_lshl_add_u32 v245, v76, 4, 0
	s_waitcnt lgkmcnt(0)
	s_barrier
	buffer_gl0_inv
	s_mov_b32 s30, 0x4267c47c
	ds_load_b128 v[20:23], v245 offset:21504
	ds_load_b128 v[24:27], v245 offset:1792
	ds_load_b128 v[40:43], v245
	ds_load_b128 v[28:31], v245 offset:19712
	ds_load_b128 v[48:51], v245 offset:3584
	s_mov_b32 s16, 0xe00740e9
	s_mov_b32 s31, 0xbfddbe06
	;; [unrolled: 1-line block ×3, first 2 shown]
	ds_load_b128 v[52:55], v245 offset:5376
	ds_load_b128 v[32:35], v245 offset:17920
	s_mov_b32 s20, 0x42a4c3d2
	s_mov_b32 s10, 0x1ea71119
	;; [unrolled: 1-line block ×8, first 2 shown]
	ds_load_b128 v[36:39], v245 offset:16128
	ds_load_b128 v[56:59], v245 offset:7168
	s_mov_b32 s14, 0x2ef20147
	s_mov_b32 s12, 0xb2365da1
	;; [unrolled: 1-line block ×3, first 2 shown]
	s_waitcnt lgkmcnt(7)
	v_add_f64 v[119:120], v[26:27], -v[22:23]
	v_add_f64 v[111:112], v[26:27], v[22:23]
	v_add_f64 v[117:118], v[24:25], v[20:21]
	s_waitcnt lgkmcnt(4)
	v_add_f64 v[103:104], v[50:51], -v[30:31]
	v_add_f64 v[121:122], v[24:25], -v[20:21]
	v_add_f64 v[83:84], v[50:51], v[30:31]
	v_add_f64 v[87:88], v[48:49], v[28:29]
	s_waitcnt lgkmcnt(2)
	v_add_f64 v[105:106], v[54:55], -v[34:35]
	v_add_f64 v[99:100], v[48:49], -v[28:29]
	v_add_f64 v[89:90], v[54:55], v[34:35]
	s_mov_b32 s22, 0x4bc48dbf
	s_mov_b32 s15, 0xbfedeba7
	s_mov_b32 s13, 0xbfd6b1d8
	s_mov_b32 s19, 0xbfef11f4
	s_mov_b32 s23, 0xbfcea1e5
	ds_load_b128 v[60:63], v245 offset:8960
	ds_load_b128 v[44:47], v245 offset:14336
	s_waitcnt lgkmcnt(2)
	v_add_f64 v[109:110], v[58:59], -v[38:39]
	v_add_f64 v[85:86], v[58:59], v[38:39]
	v_add_f64 v[133:134], v[52:53], v[32:33]
	v_add_f64 v[139:140], v[52:53], -v[32:33]
	s_mov_b32 s26, 0x24c2f84
	s_mov_b32 s28, 0xd0032e0c
	;; [unrolled: 1-line block ×6, first 2 shown]
	v_add_f64 v[97:98], v[56:57], v[36:37]
	v_add_f64 v[143:144], v[56:57], -v[36:37]
	s_mov_b32 s41, 0x3fe5384d
	s_mov_b32 s39, 0x3fddbe06
	;; [unrolled: 1-line block ×7, first 2 shown]
	s_waitcnt lgkmcnt(0)
	v_add_f64 v[107:108], v[62:63], -v[46:47]
	v_add_f64 v[81:82], v[62:63], v[46:47]
	v_add_f64 v[159:160], v[60:61], v[44:45]
	v_mul_f64 v[113:114], v[119:120], s[30:31]
	v_mul_f64 v[115:116], v[111:112], s[16:17]
	;; [unrolled: 1-line block ×24, first 2 shown]
	v_add_f64 v[193:194], v[60:61], -v[44:45]
	v_mul_f64 v[175:176], v[109:110], s[40:41]
	v_mul_f64 v[179:180], v[85:86], s[28:29]
	;; [unrolled: 1-line block ×13, first 2 shown]
	v_fma_f64 v[0:1], v[117:118], s[16:17], -v[113:114]
	v_fma_f64 v[2:3], v[121:122], s[30:31], v[115:116]
	v_fma_f64 v[8:9], v[117:118], s[10:11], -v[123:124]
	scratch_store_b64 off, v[4:5], off      ; 8-byte Folded Spill
	v_fma_f64 v[4:5], v[87:88], s[10:11], -v[4:5]
	scratch_store_b64 off, v[6:7], off offset:8 ; 8-byte Folded Spill
	v_fma_f64 v[6:7], v[99:100], s[20:21], v[6:7]
	v_fma_f64 v[10:11], v[121:122], s[20:21], v[125:126]
	v_fma_f64 v[12:13], v[117:118], s[4:5], -v[127:128]
	v_fma_f64 v[14:15], v[121:122], s[24:25], v[131:132]
	v_fma_f64 v[16:17], v[133:134], s[4:5], -v[95:96]
	;; [unrolled: 2-line block ×3, first 2 shown]
	v_fma_f64 v[163:164], v[99:100], s[22:23], v[149:150]
	ds_load_b128 v[68:71], v245 offset:10752
	ds_load_b128 v[64:67], v245 offset:12544
	v_mul_f64 v[177:178], v[81:82], s[4:5]
	v_fma_f64 v[187:188], v[97:98], s[12:13], -v[77:78]
	v_fma_f64 v[191:192], v[143:144], s[14:15], v[93:94]
	v_mul_f64 v[181:182], v[107:108], s[20:21]
	v_mul_f64 v[185:186], v[81:82], s[10:11]
	v_fma_f64 v[195:196], v[117:118], s[12:13], -v[169:170]
	v_fma_f64 v[199:200], v[121:122], s[14:15], v[171:172]
	v_fma_f64 v[201:202], v[117:118], s[28:29], -v[231:232]
	v_fma_f64 v[203:204], v[121:122], s[26:27], v[243:244]
	v_mul_f64 v[235:236], v[105:106], s[20:21]
	v_mul_f64 v[239:240], v[89:90], s[10:11]
	v_fma_f64 v[213:214], v[97:98], s[28:29], -v[175:176]
	s_mov_b32 s42, s22
	scratch_store_b64 off, v[77:78], off offset:16 ; 8-byte Folded Spill
	v_mul_f64 v[209:210], v[109:110], s[24:25]
	v_fma_f64 v[225:226], v[99:100], s[40:41], v[229:230]
	v_fma_f64 v[241:242], v[87:88], s[4:5], -v[233:234]
	v_fma_f64 v[246:247], v[99:100], s[36:37], v[237:238]
	v_mul_f64 v[211:212], v[85:86], s[4:5]
	s_waitcnt lgkmcnt(0)
	v_add_f64 v[167:168], v[70:71], -v[66:67]
	v_add_f64 v[153:154], v[70:71], v[66:67]
	v_add_f64 v[165:166], v[68:69], v[64:65]
	v_add_f64 v[189:190], v[68:69], -v[64:65]
	v_add_f64 v[0:1], v[40:41], v[0:1]
	v_add_f64 v[2:3], v[42:43], v[2:3]
	;; [unrolled: 1-line block ×3, first 2 shown]
	v_fma_f64 v[205:206], v[159:160], s[28:29], -v[155:156]
	v_fma_f64 v[207:208], v[193:194], s[26:27], v[157:158]
	v_mul_f64 v[223:224], v[109:110], s[42:43]
	s_mov_b32 s45, 0x3fea55e2
	v_add_f64 v[10:11], v[42:43], v[10:11]
	v_add_f64 v[12:13], v[40:41], v[12:13]
	;; [unrolled: 1-line block ×3, first 2 shown]
	s_mov_b32 s44, s20
	s_mov_b32 s1, exec_lo
	s_waitcnt_vscnt null, 0x0
	s_barrier
	buffer_gl0_inv
	v_fma_f64 v[252:253], v[193:194], s[36:37], v[177:178]
	v_add_f64 v[215:216], v[40:41], v[195:196]
	v_add_f64 v[227:228], v[42:43], v[199:200]
	;; [unrolled: 1-line block ×4, first 2 shown]
	v_fma_f64 v[254:255], v[133:134], s[10:11], -v[235:236]
	v_fma_f64 v[79:80], v[139:140], s[20:21], v[239:240]
	v_mul_f64 v[195:196], v[167:168], s[26:27]
	v_mul_f64 v[199:200], v[153:154], s[28:29]
	v_add_f64 v[0:1], v[4:5], v[0:1]
	v_add_f64 v[2:3], v[6:7], v[2:3]
	v_fma_f64 v[4:5], v[87:88], s[12:13], -v[129:130]
	v_fma_f64 v[6:7], v[99:100], s[14:15], v[135:136]
	v_add_f64 v[12:13], v[161:162], v[12:13]
	v_add_f64 v[14:15], v[163:164], v[14:15]
	v_mul_f64 v[161:162], v[167:168], s[22:23]
	v_mul_f64 v[163:164], v[153:154], s[18:19]
	v_add_f64 v[227:228], v[225:226], v[227:228]
	v_add_f64 v[77:78], v[241:242], v[201:202]
	;; [unrolled: 1-line block ×3, first 2 shown]
	v_mul_f64 v[241:242], v[85:86], s[18:19]
	v_mul_f64 v[201:202], v[107:108], s[42:43]
	;; [unrolled: 1-line block ×3, first 2 shown]
	v_add_f64 v[0:1], v[16:17], v[0:1]
	v_add_f64 v[2:3], v[18:19], v[2:3]
	v_fma_f64 v[16:17], v[133:134], s[18:19], -v[137:138]
	v_add_f64 v[4:5], v[4:5], v[8:9]
	v_fma_f64 v[8:9], v[139:140], s[22:23], v[141:142]
	v_add_f64 v[6:7], v[6:7], v[10:11]
	v_fma_f64 v[10:11], v[133:134], s[12:13], -v[145:146]
	v_fma_f64 v[18:19], v[139:140], s[34:35], v[151:152]
	v_fma_f64 v[248:249], v[165:166], s[18:19], -v[161:162]
	v_fma_f64 v[250:251], v[189:190], s[22:23], v[163:164]
	v_add_f64 v[77:78], v[254:255], v[77:78]
	v_fma_f64 v[254:255], v[97:98], s[18:19], -v[223:224]
	v_add_f64 v[79:80], v[79:80], v[203:204]
	v_fma_f64 v[91:92], v[143:144], s[42:43], v[241:242]
	v_mul_f64 v[203:204], v[167:168], s[44:45]
	v_add_f64 v[0:1], v[187:188], v[0:1]
	v_add_f64 v[2:3], v[191:192], v[2:3]
	v_mul_f64 v[187:188], v[167:168], s[38:39]
	v_add_f64 v[4:5], v[16:17], v[4:5]
	v_fma_f64 v[16:17], v[143:144], s[40:41], v[179:180]
	v_add_f64 v[6:7], v[8:9], v[6:7]
	v_fma_f64 v[8:9], v[97:98], s[16:17], -v[183:184]
	v_add_f64 v[10:11], v[10:11], v[12:13]
	v_fma_f64 v[12:13], v[143:144], s[38:39], v[197:198]
	v_add_f64 v[14:15], v[18:19], v[14:15]
	v_fma_f64 v[18:19], v[87:88], s[28:29], -v[217:218]
	v_mul_f64 v[191:192], v[153:154], s[16:17]
	v_add_f64 v[77:78], v[254:255], v[77:78]
	v_add_f64 v[79:80], v[91:92], v[79:80]
	;; [unrolled: 1-line block ×4, first 2 shown]
	v_fma_f64 v[207:208], v[159:160], s[4:5], -v[173:174]
	v_add_f64 v[4:5], v[213:214], v[4:5]
	v_mul_f64 v[205:206], v[81:82], s[18:19]
	v_add_f64 v[6:7], v[16:17], v[6:7]
	v_fma_f64 v[16:17], v[159:160], s[10:11], -v[181:182]
	v_add_f64 v[8:9], v[8:9], v[10:11]
	v_fma_f64 v[10:11], v[193:194], s[20:21], v[185:186]
	v_add_f64 v[12:13], v[12:13], v[14:15]
	v_fma_f64 v[14:15], v[133:134], s[16:17], -v[219:220]
	v_add_f64 v[18:19], v[18:19], v[215:216]
	v_fma_f64 v[215:216], v[139:140], s[38:39], v[221:222]
	v_mul_f64 v[213:214], v[107:108], s[38:39]
	v_fma_f64 v[246:247], v[165:166], s[16:17], -v[187:188]
	v_add_f64 v[0:1], v[248:249], v[0:1]
	v_add_f64 v[2:3], v[250:251], v[2:3]
	v_fma_f64 v[248:249], v[165:166], s[28:29], -v[195:196]
	v_add_f64 v[4:5], v[207:208], v[4:5]
	v_fma_f64 v[207:208], v[189:190], s[38:39], v[191:192]
	v_add_f64 v[6:7], v[252:253], v[6:7]
	v_fma_f64 v[250:251], v[189:190], s[26:27], v[199:200]
	;; [unrolled: 2-line block ×3, first 2 shown]
	v_add_f64 v[12:13], v[10:11], v[12:13]
	v_add_f64 v[14:15], v[14:15], v[18:19]
	v_fma_f64 v[18:19], v[97:98], s[4:5], -v[209:210]
	v_add_f64 v[227:228], v[215:216], v[227:228]
	v_mul_f64 v[215:216], v[167:168], s[14:15]
	v_add_f64 v[8:9], v[246:247], v[4:5]
	v_fma_f64 v[246:247], v[159:160], s[16:17], -v[213:214]
	v_add_f64 v[10:11], v[207:208], v[6:7]
	v_mul_f64 v[207:208], v[153:154], s[10:11]
	v_add_f64 v[4:5], v[248:249], v[16:17]
	v_fma_f64 v[16:17], v[193:194], s[42:43], v[205:206]
	v_add_f64 v[6:7], v[250:251], v[12:13]
	v_fma_f64 v[12:13], v[159:160], s[18:19], -v[201:202]
	v_fma_f64 v[248:249], v[193:194], s[38:39], v[225:226]
	v_add_f64 v[14:15], v[18:19], v[14:15]
	v_add_f64 v[18:19], v[252:253], v[227:228]
	v_mul_f64 v[227:228], v[153:154], s[12:13]
	v_add_f64 v[77:78], v[246:247], v[77:78]
	v_fma_f64 v[246:247], v[165:166], s[12:13], -v[215:216]
	v_fma_f64 v[91:92], v[189:190], s[44:45], v[207:208]
	v_add_f64 v[79:80], v[248:249], v[79:80]
	v_add_f64 v[12:13], v[12:13], v[14:15]
	v_fma_f64 v[14:15], v[165:166], s[10:11], -v[203:204]
	v_add_f64 v[18:19], v[16:17], v[18:19]
	v_fma_f64 v[248:249], v[189:190], s[14:15], v[227:228]
	s_delay_alu instid0(VALU_DEP_3) | instskip(NEXT) | instid1(VALU_DEP_3)
	v_add_f64 v[16:17], v[14:15], v[12:13]
	v_add_f64 v[18:19], v[91:92], v[18:19]
	;; [unrolled: 1-line block ×3, first 2 shown]
	s_delay_alu instid0(VALU_DEP_4)
	v_add_f64 v[14:15], v[248:249], v[79:80]
	v_cmpx_gt_u32_e32 0x70, v76
	s_cbranch_execz .LBB0_15
; %bb.14:
	s_clause 0x1
	scratch_load_b64 v[248:249], off, off offset:8
	scratch_load_b64 v[250:251], off, off
	v_add_f64 v[26:27], v[42:43], v[26:27]
	v_add_f64 v[24:25], v[40:41], v[24:25]
	v_mul_f64 v[79:80], v[117:118], s[4:5]
	v_mul_f64 v[246:247], v[117:118], s[16:17]
	;; [unrolled: 1-line block ×8, first 2 shown]
	v_add_f64 v[26:27], v[26:27], v[50:51]
	v_add_f64 v[24:25], v[24:25], v[48:49]
	v_mul_f64 v[48:49], v[121:122], s[22:23]
	v_mul_f64 v[50:51], v[119:120], s[22:23]
	;; [unrolled: 1-line block ×3, first 2 shown]
	v_add_f64 v[79:80], v[79:80], v[127:128]
	v_add_f64 v[113:114], v[246:247], v[113:114]
	v_add_f64 v[91:92], v[125:126], -v[91:92]
	v_mul_f64 v[125:126], v[99:100], s[14:15]
	v_add_f64 v[77:78], v[131:132], -v[77:78]
	v_mul_f64 v[131:132], v[87:88], s[18:19]
	v_mul_f64 v[127:128], v[87:88], s[4:5]
	;; [unrolled: 1-line block ×3, first 2 shown]
	v_add_f64 v[26:27], v[26:27], v[54:55]
	v_add_f64 v[24:25], v[24:25], v[52:53]
	v_mul_f64 v[54:55], v[117:118], s[28:29]
	v_mul_f64 v[52:53], v[121:122], s[26:27]
	v_add_f64 v[79:80], v[40:41], v[79:80]
	v_add_f64 v[91:92], v[42:43], v[91:92]
	v_add_f64 v[125:126], v[135:136], -v[125:126]
	v_mul_f64 v[135:136], v[143:144], s[40:41]
	v_add_f64 v[77:78], v[42:43], v[77:78]
	v_add_f64 v[131:132], v[131:132], v[147:148]
	;; [unrolled: 1-line block ×3, first 2 shown]
	v_fma_f64 v[233:234], v[133:134], s[28:29], -v[105:106]
	v_fma_f64 v[105:106], v[133:134], s[28:29], v[105:106]
	v_mul_f64 v[147:148], v[97:98], s[28:29]
	v_add_f64 v[239:240], v[239:240], -v[246:247]
	v_mul_f64 v[246:247], v[97:98], s[18:19]
	v_add_f64 v[26:27], v[26:27], v[58:59]
	v_add_f64 v[24:25], v[24:25], v[56:57]
	v_mul_f64 v[58:59], v[117:118], s[12:13]
	v_mul_f64 v[56:57], v[121:122], s[14:15]
	v_add_f64 v[54:55], v[54:55], v[231:232]
	v_mul_f64 v[121:122], v[121:122], s[30:31]
	v_add_f64 v[52:53], v[243:244], -v[52:53]
	v_mul_f64 v[243:244], v[139:140], s[34:35]
	v_mul_f64 v[231:232], v[133:134], s[12:13]
	v_add_f64 v[79:80], v[131:132], v[79:80]
	v_add_f64 v[131:132], v[179:180], -v[135:136]
	v_add_f64 v[135:136], v[147:148], v[175:176]
	v_add_f64 v[26:27], v[26:27], v[62:63]
	;; [unrolled: 1-line block ×3, first 2 shown]
	v_fma_f64 v[60:61], v[111:112], s[18:19], v[48:49]
	v_fma_f64 v[62:63], v[117:118], s[18:19], -v[50:51]
	v_fma_f64 v[48:49], v[111:112], s[18:19], -v[48:49]
	v_fma_f64 v[50:51], v[117:118], s[18:19], v[50:51]
	v_add_f64 v[58:59], v[58:59], v[169:170]
	v_add_f64 v[111:112], v[119:120], v[123:124]
	v_add_f64 v[56:57], v[171:172], -v[56:57]
	v_mul_f64 v[117:118], v[87:88], s[10:11]
	v_mul_f64 v[169:170], v[99:100], s[22:23]
	;; [unrolled: 1-line block ×3, first 2 shown]
	v_add_f64 v[54:55], v[40:41], v[54:55]
	v_add_f64 v[115:116], v[115:116], -v[121:122]
	v_mul_f64 v[119:120], v[99:100], s[20:21]
	v_mul_f64 v[121:122], v[87:88], s[12:13]
	;; [unrolled: 1-line block ×3, first 2 shown]
	v_add_f64 v[52:53], v[42:43], v[52:53]
	v_add_f64 v[151:152], v[151:152], -v[243:244]
	v_add_f64 v[145:146], v[231:232], v[145:146]
	v_mul_f64 v[243:244], v[159:160], s[4:5]
	v_mul_f64 v[231:232], v[193:194], s[36:37]
	v_add_f64 v[26:27], v[26:27], v[70:71]
	v_add_f64 v[24:25], v[24:25], v[68:69]
	v_mul_f64 v[68:69], v[139:140], s[26:27]
	v_add_f64 v[62:63], v[40:41], v[62:63]
	v_mul_f64 v[70:71], v[99:100], s[38:39]
	v_add_f64 v[50:51], v[40:41], v[50:51]
	v_add_f64 v[58:59], v[40:41], v[58:59]
	;; [unrolled: 1-line block ×4, first 2 shown]
	v_mul_f64 v[113:114], v[133:134], s[10:11]
	v_add_f64 v[149:150], v[149:150], -v[169:170]
	v_mul_f64 v[169:170], v[143:144], s[14:15]
	v_add_f64 v[171:172], v[171:172], v[217:218]
	v_mul_f64 v[217:218], v[143:144], s[38:39]
	v_mul_f64 v[99:100], v[99:100], s[40:41]
	v_add_f64 v[60:61], v[42:43], v[60:61]
	v_add_f64 v[48:49], v[42:43], v[48:49]
	;; [unrolled: 1-line block ×4, first 2 shown]
	v_mul_f64 v[115:116], v[139:140], s[38:39]
	v_add_f64 v[123:124], v[237:238], -v[123:124]
	v_mul_f64 v[237:238], v[133:134], s[18:19]
	v_add_f64 v[121:122], v[121:122], v[129:130]
	v_mul_f64 v[129:130], v[97:98], s[16:17]
	v_add_f64 v[54:55], v[127:128], v[54:55]
	v_add_f64 v[26:27], v[26:27], v[66:67]
	;; [unrolled: 1-line block ×3, first 2 shown]
	v_fma_f64 v[66:67], v[89:90], s[28:29], v[68:69]
	v_fma_f64 v[68:69], v[89:90], s[28:29], -v[68:69]
	v_fma_f64 v[89:90], v[83:84], s[16:17], v[70:71]
	v_fma_f64 v[70:71], v[83:84], s[16:17], -v[70:71]
	v_fma_f64 v[83:84], v[87:88], s[16:17], -v[103:104]
	v_fma_f64 v[87:88], v[87:88], s[16:17], v[103:104]
	v_mul_f64 v[103:104], v[139:140], s[24:25]
	v_add_f64 v[113:114], v[113:114], v[235:236]
	v_mul_f64 v[235:236], v[143:144], s[42:43]
	v_mul_f64 v[139:140], v[139:140], s[22:23]
	;; [unrolled: 1-line block ×4, first 2 shown]
	v_add_f64 v[99:100], v[229:230], -v[99:100]
	v_add_f64 v[58:59], v[171:172], v[58:59]
	v_mul_f64 v[229:230], v[97:98], s[12:13]
	v_add_f64 v[127:128], v[197:198], -v[217:218]
	v_add_f64 v[93:94], v[93:94], -v[169:170]
	;; [unrolled: 1-line block ×3, first 2 shown]
	v_add_f64 v[52:53], v[123:124], v[52:53]
	v_add_f64 v[137:138], v[237:238], v[137:138]
	v_mul_f64 v[237:238], v[193:194], s[20:21]
	v_add_f64 v[129:130], v[129:130], v[183:184]
	v_mul_f64 v[221:222], v[159:160], s[28:29]
	v_add_f64 v[26:27], v[26:27], v[46:47]
	v_add_f64 v[24:25], v[24:25], v[44:45]
	v_mul_f64 v[46:47], v[193:194], s[38:39]
	v_mul_f64 v[44:45], v[159:160], s[16:17]
	v_add_f64 v[60:61], v[89:90], v[60:61]
	v_add_f64 v[48:49], v[70:71], v[48:49]
	;; [unrolled: 1-line block ×7, first 2 shown]
	v_add_f64 v[139:140], v[141:142], -v[139:140]
	v_add_f64 v[64:65], v[64:65], v[219:220]
	v_add_f64 v[101:102], v[101:102], -v[103:104]
	v_add_f64 v[56:57], v[99:100], v[56:57]
	v_add_f64 v[95:96], v[133:134], v[95:96]
	v_mul_f64 v[141:142], v[159:160], s[10:11]
	v_mul_f64 v[133:134], v[193:194], s[42:43]
	;; [unrolled: 1-line block ×4, first 2 shown]
	v_add_f64 v[52:53], v[239:240], v[52:53]
	v_add_f64 v[121:122], v[246:247], v[223:224]
	v_add_f64 v[54:55], v[113:114], v[54:55]
	v_mul_f64 v[219:220], v[193:194], s[26:27]
	v_mul_f64 v[91:92], v[165:166], s[16:17]
	;; [unrolled: 1-line block ×5, first 2 shown]
	v_add_f64 v[147:148], v[221:222], v[155:156]
	v_add_f64 v[26:27], v[26:27], v[38:39]
	;; [unrolled: 1-line block ×3, first 2 shown]
	v_mul_f64 v[38:39], v[165:166], s[28:29]
	v_add_f64 v[46:47], v[225:226], -v[46:47]
	v_add_f64 v[60:61], v[66:67], v[60:61]
	v_add_f64 v[48:49], v[68:69], v[48:49]
	;; [unrolled: 1-line block ×10, first 2 shown]
	s_waitcnt vmcnt(1)
	v_add_f64 v[119:120], v[248:249], -v[119:120]
	s_waitcnt vmcnt(0)
	v_add_f64 v[117:118], v[117:118], v[250:251]
	v_mul_f64 v[250:251], v[143:144], s[24:25]
	v_mul_f64 v[143:144], v[143:144], s[44:45]
	;; [unrolled: 1-line block ×3, first 2 shown]
	v_add_f64 v[56:57], v[115:116], v[56:57]
	v_fma_f64 v[113:114], v[81:82], s[12:13], v[111:112]
	v_fma_f64 v[115:116], v[159:160], s[12:13], -v[107:108]
	v_fma_f64 v[81:82], v[81:82], s[12:13], -v[111:112]
	v_add_f64 v[111:112], v[205:206], -v[133:134]
	v_add_f64 v[133:134], v[185:186], -v[237:238]
	v_add_f64 v[137:138], v[141:142], v[181:182]
	v_add_f64 v[139:140], v[177:178], -v[231:232]
	v_add_f64 v[141:142], v[243:244], v[173:174]
	v_mul_f64 v[64:65], v[165:166], s[10:11]
	v_mul_f64 v[79:80], v[189:190], s[44:45]
	;; [unrolled: 1-line block ×3, first 2 shown]
	v_add_f64 v[103:104], v[103:104], v[201:202]
	v_mul_f64 v[83:84], v[165:166], s[12:13]
	v_add_f64 v[54:55], v[121:122], v[54:55]
	v_fma_f64 v[107:108], v[159:160], s[12:13], v[107:108]
	v_add_f64 v[145:146], v[157:158], -v[219:220]
	v_add_f64 v[99:100], v[191:192], -v[99:100]
	v_add_f64 v[91:92], v[91:92], v[187:188]
	v_add_f64 v[26:27], v[26:27], v[34:35]
	;; [unrolled: 1-line block ×3, first 2 shown]
	v_add_f64 v[89:90], v[163:164], -v[89:90]
	v_add_f64 v[87:88], v[87:88], v[161:162]
	v_add_f64 v[66:67], v[127:128], v[66:67]
	;; [unrolled: 1-line block ×7, first 2 shown]
	v_fma_f64 v[119:120], v[97:98], s[10:11], -v[109:110]
	v_fma_f64 v[117:118], v[85:86], s[10:11], v[143:144]
	v_fma_f64 v[85:86], v[85:86], s[10:11], -v[143:144]
	scratch_load_b64 v[143:144], off, off offset:16 ; 8-byte Folded Reload
	v_fma_f64 v[97:98], v[97:98], s[10:11], v[109:110]
	v_add_f64 v[109:110], v[241:242], -v[235:236]
	v_add_f64 v[123:124], v[211:212], -v[250:251]
	v_add_f64 v[125:126], v[248:249], v[209:210]
	v_add_f64 v[64:65], v[64:65], v[203:204]
	v_add_f64 v[79:80], v[207:208], -v[79:80]
	v_add_f64 v[83:84], v[83:84], v[215:216]
	v_add_f64 v[54:55], v[44:45], v[54:55]
	;; [unrolled: 1-line block ×4, first 2 shown]
	v_mul_f64 v[95:96], v[189:190], s[14:15]
	v_mul_f64 v[101:102], v[189:190], s[36:37]
	v_add_f64 v[60:61], v[117:118], v[60:61]
	v_add_f64 v[62:63], v[119:120], v[62:63]
	v_mul_f64 v[40:41], v[189:190], s[26:27]
	v_add_f64 v[52:53], v[109:110], v[52:53]
	v_add_f64 v[56:57], v[123:124], v[56:57]
	;; [unrolled: 1-line block ×7, first 2 shown]
	v_fma_f64 v[93:94], v[165:166], s[4:5], v[105:106]
	v_add_f64 v[95:96], v[227:228], -v[95:96]
	v_fma_f64 v[34:35], v[153:154], s[4:5], v[101:102]
	v_add_f64 v[38:39], v[113:114], v[60:61]
	v_add_f64 v[60:61], v[115:116], v[62:63]
	;; [unrolled: 1-line block ×7, first 2 shown]
	v_add_f64 v[40:41], v[199:200], -v[40:41]
	v_add_f64 v[68:69], v[137:138], v[77:78]
	v_add_f64 v[58:59], v[103:104], v[58:59]
	v_fma_f64 v[85:86], v[153:154], s[4:5], -v[101:102]
	v_add_f64 v[48:49], v[81:82], v[48:49]
	v_add_f64 v[50:51], v[107:108], v[50:51]
	;; [unrolled: 1-line block ×12, first 2 shown]
	v_mad_u32_u24 v52, 0xc0, v76, v245
	v_add_f64 v[30:31], v[85:86], v[48:49]
	v_add_f64 v[28:29], v[93:94], v[50:51]
	;; [unrolled: 1-line block ×5, first 2 shown]
	s_waitcnt vmcnt(0)
	v_add_f64 v[143:144], v[229:230], v[143:144]
	s_delay_alu instid0(VALU_DEP_1) | instskip(SKIP_1) | instid1(VALU_DEP_2)
	v_add_f64 v[32:33], v[143:144], v[36:37]
	v_fma_f64 v[36:37], v[165:166], s[4:5], -v[105:106]
	v_add_f64 v[101:102], v[147:148], v[32:33]
	s_delay_alu instid0(VALU_DEP_2) | instskip(SKIP_2) | instid1(VALU_DEP_4)
	v_add_f64 v[24:25], v[36:37], v[60:61]
	v_add_f64 v[36:37], v[64:65], v[58:59]
	;; [unrolled: 1-line block ×4, first 2 shown]
	ds_store_b128 v52, v[12:15] offset:128
	ds_store_b128 v52, v[16:19] offset:144
	;; [unrolled: 1-line block ×10, first 2 shown]
	ds_store_b128 v52, v[20:23]
	ds_store_b128 v52, v[48:51] offset:16
	ds_store_b128 v52, v[0:3] offset:192
.LBB0_15:
	s_or_b32 exec_lo, exec_lo, s1
	v_and_b32_e32 v20, 0xff, v76
	v_add_nc_u32_e32 v56, 0xb6, v76
	s_load_b64 s[2:3], s[2:3], 0x0
	s_waitcnt lgkmcnt(0)
	s_barrier
	v_mul_lo_u16 v58, 0x4f, v20
	v_and_b32_e32 v20, 0xffff, v56
	buffer_gl0_inv
	v_cmp_gt_u32_e64 s0, 26, v76
	v_lshrrev_b16 v71, 10, v58
	v_mul_u32_u24_e32 v57, 0x4ec5, v20
	s_delay_alu instid0(VALU_DEP_2) | instskip(NEXT) | instid1(VALU_DEP_2)
	v_mul_lo_u16 v20, v71, 13
	v_lshrrev_b32_e32 v89, 18, v57
	s_delay_alu instid0(VALU_DEP_2) | instskip(NEXT) | instid1(VALU_DEP_2)
	v_sub_nc_u16 v20, v76, v20
	v_mul_lo_u16 v21, v89, 13
	s_delay_alu instid0(VALU_DEP_2) | instskip(NEXT) | instid1(VALU_DEP_2)
	v_and_b32_e32 v90, 0xff, v20
	v_sub_nc_u16 v20, v56, v21
	s_delay_alu instid0(VALU_DEP_2) | instskip(NEXT) | instid1(VALU_DEP_2)
	v_mul_u32_u24_e32 v21, 3, v90
	v_and_b32_e32 v91, 0xffff, v20
	s_delay_alu instid0(VALU_DEP_2) | instskip(NEXT) | instid1(VALU_DEP_2)
	v_lshlrev_b32_e32 v28, 4, v21
	v_mul_u32_u24_e32 v24, 3, v91
	global_load_b128 v[20:23], v28, s[8:9]
	v_lshlrev_b32_e32 v40, 4, v24
	s_clause 0x4
	global_load_b128 v[24:27], v28, s[8:9] offset:16
	global_load_b128 v[28:31], v28, s[8:9] offset:32
	global_load_b128 v[32:35], v40, s[8:9]
	global_load_b128 v[36:39], v40, s[8:9] offset:16
	global_load_b128 v[40:43], v40, s[8:9] offset:32
	ds_load_b128 v[44:47], v245 offset:5824
	ds_load_b128 v[48:51], v245 offset:11648
	;; [unrolled: 1-line block ×6, first 2 shown]
	s_waitcnt vmcnt(4) lgkmcnt(4)
	v_mul_f64 v[79:80], v[50:51], v[26:27]
	v_mul_f64 v[77:78], v[46:47], v[22:23]
	;; [unrolled: 1-line block ×4, first 2 shown]
	s_waitcnt vmcnt(3) lgkmcnt(3)
	v_mul_f64 v[81:82], v[54:55], v[30:31]
	v_mul_f64 v[30:31], v[52:53], v[30:31]
	s_waitcnt vmcnt(2) lgkmcnt(2)
	v_mul_f64 v[83:84], v[61:62], v[34:35]
	v_mul_f64 v[34:35], v[59:60], v[34:35]
	;; [unrolled: 3-line block ×4, first 2 shown]
	v_fma_f64 v[48:49], v[48:49], v[24:25], v[79:80]
	v_fma_f64 v[44:45], v[44:45], v[20:21], v[77:78]
	v_fma_f64 v[46:47], v[46:47], v[20:21], -v[22:23]
	v_fma_f64 v[50:51], v[50:51], v[24:25], -v[26:27]
	v_fma_f64 v[52:53], v[52:53], v[28:29], v[81:82]
	v_fma_f64 v[28:29], v[54:55], v[28:29], -v[30:31]
	v_fma_f64 v[30:31], v[59:60], v[32:33], v[83:84]
	v_fma_f64 v[32:33], v[61:62], v[32:33], -v[34:35]
	v_fma_f64 v[34:35], v[63:64], v[36:37], v[85:86]
	v_fma_f64 v[36:37], v[65:66], v[36:37], -v[38:39]
	v_fma_f64 v[38:39], v[67:68], v[40:41], v[87:88]
	v_fma_f64 v[40:41], v[69:70], v[40:41], -v[42:43]
	ds_load_b128 v[20:23], v245
	ds_load_b128 v[24:27], v245 offset:2912
	s_waitcnt lgkmcnt(0)
	s_barrier
	buffer_gl0_inv
	v_add_f64 v[42:43], v[20:21], -v[48:49]
	v_add_f64 v[48:49], v[22:23], -v[50:51]
	;; [unrolled: 1-line block ×8, first 2 shown]
	v_fma_f64 v[38:39], v[20:21], 2.0, -v[42:43]
	v_fma_f64 v[59:60], v[22:23], 2.0, -v[48:49]
	;; [unrolled: 1-line block ×8, first 2 shown]
	v_add_f64 v[24:25], v[42:43], v[28:29]
	v_add_f64 v[26:27], v[48:49], -v[50:51]
	v_add_f64 v[28:29], v[38:39], -v[20:21]
	v_add_f64 v[30:31], v[59:60], -v[22:23]
	v_add_f64 v[20:21], v[52:53], v[34:35]
	v_add_f64 v[22:23], v[54:55], -v[36:37]
	v_add_f64 v[32:33], v[46:47], -v[40:41]
	;; [unrolled: 1-line block ×3, first 2 shown]
	v_fma_f64 v[36:37], v[42:43], 2.0, -v[24:25]
	v_fma_f64 v[40:41], v[38:39], 2.0, -v[28:29]
	;; [unrolled: 1-line block ×5, first 2 shown]
	v_and_b32_e32 v52, 0xffff, v71
	v_mul_u32_u24_e32 v53, 0x340, v89
	v_fma_f64 v[48:49], v[46:47], 2.0, -v[32:33]
	v_fma_f64 v[50:51], v[61:62], 2.0, -v[34:35]
	;; [unrolled: 1-line block ×3, first 2 shown]
	v_mul_u32_u24_e32 v52, 0x340, v52
	v_lshlrev_b32_e32 v54, 4, v90
	v_lshlrev_b32_e32 v55, 4, v91
	s_delay_alu instid0(VALU_DEP_2) | instskip(NEXT) | instid1(VALU_DEP_2)
	v_add3_u32 v52, 0, v52, v54
	v_add3_u32 v53, 0, v53, v55
	ds_store_b128 v52, v[28:31] offset:416
	ds_store_b128 v52, v[24:27] offset:624
	ds_store_b128 v52, v[40:43]
	ds_store_b128 v52, v[36:39] offset:208
	ds_store_b128 v53, v[32:35] offset:416
	ds_store_b128 v53, v[20:23] offset:624
	ds_store_b128 v53, v[48:51]
	ds_store_b128 v53, v[44:47] offset:208
	s_waitcnt lgkmcnt(0)
	s_barrier
	buffer_gl0_inv
	ds_load_b128 v[28:31], v245
	ds_load_b128 v[48:51], v245 offset:3328
	ds_load_b128 v[44:47], v245 offset:6656
	ds_load_b128 v[36:39], v245 offset:9984
	ds_load_b128 v[32:35], v245 offset:13312
	ds_load_b128 v[40:43], v245 offset:16640
	ds_load_b128 v[52:55], v245 offset:19968
                                        ; implicit-def: $vgpr26_vgpr27
	s_and_saveexec_b32 s1, s0
	s_cbranch_execz .LBB0_17
; %bb.16:
	ds_load_b128 v[20:23], v245 offset:2912
	ds_load_b128 v[12:15], v245 offset:6240
	;; [unrolled: 1-line block ×7, first 2 shown]
.LBB0_17:
	s_or_b32 exec_lo, exec_lo, s1
	v_lshrrev_b16 v99, 12, v58
	s_mov_b32 s10, 0x37e14327
	s_mov_b32 s12, 0xe976ee23
	;; [unrolled: 1-line block ×4, first 2 shown]
	v_mul_lo_u16 v58, v99, 52
	s_mov_b32 s4, 0x429ad128
	s_mov_b32 s5, 0xbfebfeb5
	;; [unrolled: 1-line block ×4, first 2 shown]
	v_sub_nc_u16 v58, v76, v58
	s_mov_b32 s14, 0xaaaaaaaa
	s_mov_b32 s22, 0xb247c609
	;; [unrolled: 1-line block ×4, first 2 shown]
	v_and_b32_e32 v100, 0xff, v58
	s_mov_b32 s23, 0xbfd5d0dc
	s_mov_b32 s17, 0x3fe77f67
	;; [unrolled: 1-line block ×4, first 2 shown]
	v_mul_u32_u24_e32 v58, 6, v100
	s_mov_b32 s20, s16
	s_mov_b32 s24, s22
	;; [unrolled: 1-line block ×4, first 2 shown]
	v_lshlrev_b32_e32 v70, 4, v58
	s_clause 0x5
	global_load_b128 v[58:61], v70, s[8:9] offset:624
	global_load_b128 v[62:65], v70, s[8:9] offset:640
	;; [unrolled: 1-line block ×6, first 2 shown]
	s_waitcnt vmcnt(0) lgkmcnt(0)
	s_barrier
	buffer_gl0_inv
	v_mul_f64 v[70:71], v[50:51], v[60:61]
	v_mul_f64 v[60:61], v[48:49], v[60:61]
	;; [unrolled: 1-line block ×12, first 2 shown]
	v_fma_f64 v[48:49], v[48:49], v[58:59], v[70:71]
	v_fma_f64 v[50:51], v[50:51], v[58:59], -v[60:61]
	v_fma_f64 v[44:45], v[44:45], v[62:63], v[89:90]
	v_fma_f64 v[46:47], v[46:47], v[62:63], -v[64:65]
	;; [unrolled: 2-line block ×6, first 2 shown]
	v_add_f64 v[58:59], v[48:49], v[52:53]
	v_add_f64 v[60:61], v[50:51], v[54:55]
	;; [unrolled: 1-line block ×4, first 2 shown]
	v_add_f64 v[40:41], v[44:45], -v[40:41]
	v_add_f64 v[42:43], v[46:47], -v[42:43]
	v_add_f64 v[44:45], v[36:37], v[32:33]
	v_add_f64 v[46:47], v[38:39], v[34:35]
	v_add_f64 v[32:33], v[32:33], -v[36:37]
	v_add_f64 v[34:35], v[34:35], -v[38:39]
	;; [unrolled: 1-line block ×4, first 2 shown]
	v_add_f64 v[48:49], v[62:63], v[58:59]
	v_add_f64 v[50:51], v[64:65], v[60:61]
	v_add_f64 v[52:53], v[58:59], -v[44:45]
	v_add_f64 v[54:55], v[60:61], -v[46:47]
	;; [unrolled: 1-line block ×6, first 2 shown]
	v_add_f64 v[40:41], v[32:33], v[40:41]
	v_add_f64 v[42:43], v[34:35], v[42:43]
	v_add_f64 v[32:33], v[36:37], -v[32:33]
	v_add_f64 v[34:35], v[38:39], -v[34:35]
	;; [unrolled: 1-line block ×4, first 2 shown]
	v_add_f64 v[48:49], v[44:45], v[48:49]
	v_add_f64 v[50:51], v[46:47], v[50:51]
	v_add_f64 v[44:45], v[44:45], -v[62:63]
	v_add_f64 v[46:47], v[46:47], -v[64:65]
	v_mul_f64 v[52:53], v[52:53], s[10:11]
	v_mul_f64 v[54:55], v[54:55], s[10:11]
	;; [unrolled: 1-line block ×6, first 2 shown]
	v_add_f64 v[36:37], v[40:41], v[36:37]
	v_add_f64 v[38:39], v[42:43], v[38:39]
	;; [unrolled: 1-line block ×4, first 2 shown]
	v_mul_f64 v[62:63], v[44:45], s[18:19]
	v_mul_f64 v[64:65], v[46:47], s[18:19]
	v_fma_f64 v[40:41], v[44:45], s[18:19], v[52:53]
	v_fma_f64 v[42:43], v[46:47], s[18:19], v[54:55]
	;; [unrolled: 1-line block ×4, first 2 shown]
	v_fma_f64 v[66:67], v[70:71], s[4:5], -v[66:67]
	v_fma_f64 v[68:69], v[77:78], s[4:5], -v[68:69]
	;; [unrolled: 1-line block ×6, first 2 shown]
	v_fma_f64 v[48:49], v[48:49], s[14:15], v[28:29]
	v_fma_f64 v[50:51], v[50:51], s[14:15], v[30:31]
	v_fma_f64 v[58:59], v[58:59], s[16:17], -v[62:63]
	v_fma_f64 v[60:61], v[60:61], s[16:17], -v[64:65]
	v_fma_f64 v[62:63], v[36:37], s[26:27], v[44:45]
	v_fma_f64 v[64:65], v[38:39], s[26:27], v[46:47]
	;; [unrolled: 1-line block ×6, first 2 shown]
	v_add_f64 v[70:71], v[40:41], v[48:49]
	v_add_f64 v[77:78], v[42:43], v[50:51]
	;; [unrolled: 1-line block ×6, first 2 shown]
	v_and_b32_e32 v58, 0xffff, v99
	v_lshlrev_b32_e32 v59, 4, v100
	s_delay_alu instid0(VALU_DEP_2) | instskip(NEXT) | instid1(VALU_DEP_1)
	v_mul_u32_u24_e32 v58, 0x16c0, v58
	v_add3_u32 v58, 0, v58, v59
	v_add_f64 v[32:33], v[64:65], v[70:71]
	v_add_f64 v[34:35], v[77:78], -v[62:63]
	v_add_f64 v[36:37], v[68:69], v[52:53]
	v_add_f64 v[38:39], v[54:55], -v[66:67]
	v_add_f64 v[40:41], v[48:49], -v[44:45]
	v_add_f64 v[42:43], v[46:47], v[50:51]
	v_add_f64 v[44:45], v[44:45], v[48:49]
	v_add_f64 v[46:47], v[50:51], -v[46:47]
	v_add_f64 v[48:49], v[52:53], -v[68:69]
	v_add_f64 v[50:51], v[66:67], v[54:55]
	v_add_f64 v[52:53], v[70:71], -v[64:65]
	v_add_f64 v[54:55], v[62:63], v[77:78]
	ds_store_b128 v58, v[28:31]
	ds_store_b128 v58, v[32:35] offset:832
	ds_store_b128 v58, v[36:39] offset:1664
	ds_store_b128 v58, v[40:43] offset:2496
	ds_store_b128 v58, v[44:47] offset:3328
	ds_store_b128 v58, v[48:51] offset:4160
	ds_store_b128 v58, v[52:55] offset:4992
	s_and_saveexec_b32 s1, s0
	s_cbranch_execz .LBB0_19
; %bb.18:
	v_lshrrev_b32_e32 v28, 20, v57
	s_delay_alu instid0(VALU_DEP_1) | instskip(NEXT) | instid1(VALU_DEP_1)
	v_mul_lo_u16 v28, v28, 52
	v_sub_nc_u16 v28, v56, v28
	s_delay_alu instid0(VALU_DEP_1) | instskip(NEXT) | instid1(VALU_DEP_1)
	v_and_b32_e32 v64, 0xffff, v28
	v_mul_u32_u24_e32 v28, 6, v64
	s_delay_alu instid0(VALU_DEP_1)
	v_lshlrev_b32_e32 v48, 4, v28
	s_clause 0x5
	global_load_b128 v[28:31], v48, s[8:9] offset:640
	global_load_b128 v[32:35], v48, s[8:9] offset:688
	;; [unrolled: 1-line block ×6, first 2 shown]
	s_waitcnt vmcnt(5)
	v_mul_f64 v[52:53], v[16:17], v[30:31]
	s_waitcnt vmcnt(4)
	v_mul_f64 v[54:55], v[0:1], v[34:35]
	;; [unrolled: 2-line block ×4, first 2 shown]
	v_mul_f64 v[30:31], v[18:19], v[30:31]
	v_mul_f64 v[34:35], v[2:3], v[34:35]
	;; [unrolled: 1-line block ×4, first 2 shown]
	s_waitcnt vmcnt(1)
	v_mul_f64 v[60:61], v[10:11], v[46:47]
	s_waitcnt vmcnt(0)
	v_mul_f64 v[62:63], v[6:7], v[50:51]
	v_mul_f64 v[50:51], v[4:5], v[50:51]
	;; [unrolled: 1-line block ×3, first 2 shown]
	v_fma_f64 v[18:19], v[18:19], v[28:29], -v[52:53]
	v_fma_f64 v[2:3], v[2:3], v[32:33], -v[54:55]
	v_fma_f64 v[14:15], v[14:15], v[36:37], -v[56:57]
	v_fma_f64 v[26:27], v[26:27], v[40:41], -v[58:59]
	v_fma_f64 v[16:17], v[16:17], v[28:29], v[30:31]
	v_fma_f64 v[0:1], v[0:1], v[32:33], v[34:35]
	;; [unrolled: 1-line block ×6, first 2 shown]
	v_fma_f64 v[6:7], v[6:7], v[48:49], -v[50:51]
	v_fma_f64 v[10:11], v[10:11], v[44:45], -v[46:47]
	v_add_f64 v[28:29], v[18:19], v[2:3]
	v_add_f64 v[2:3], v[18:19], -v[2:3]
	v_add_f64 v[30:31], v[14:15], v[26:27]
	v_add_f64 v[32:33], v[16:17], v[0:1]
	v_add_f64 v[0:1], v[16:17], -v[0:1]
	v_add_f64 v[34:35], v[12:13], v[24:25]
	v_add_f64 v[36:37], v[8:9], -v[4:5]
	v_add_f64 v[4:5], v[4:5], v[8:9]
	v_add_f64 v[16:17], v[6:7], v[10:11]
	v_add_f64 v[8:9], v[12:13], -v[24:25]
	v_add_f64 v[6:7], v[10:11], -v[6:7]
	v_add_f64 v[10:11], v[14:15], -v[26:27]
	v_add_f64 v[12:13], v[28:29], v[30:31]
	v_add_f64 v[14:15], v[32:33], v[34:35]
	v_add_f64 v[18:19], v[36:37], -v[0:1]
	v_add_f64 v[26:27], v[34:35], -v[4:5]
	v_add_f64 v[24:25], v[30:31], -v[16:17]
	v_add_f64 v[38:39], v[0:1], -v[8:9]
	v_add_f64 v[40:41], v[6:7], -v[2:3]
	v_add_f64 v[42:43], v[2:3], -v[10:11]
	v_add_f64 v[44:45], v[36:37], v[0:1]
	v_add_f64 v[36:37], v[8:9], -v[36:37]
	v_add_f64 v[46:47], v[6:7], v[2:3]
	v_add_f64 v[6:7], v[10:11], -v[6:7]
	;; [unrolled: 2-line block ×4, first 2 shown]
	v_mul_f64 v[18:19], v[18:19], s[12:13]
	v_mul_f64 v[26:27], v[26:27], s[10:11]
	;; [unrolled: 1-line block ×4, first 2 shown]
	v_add_f64 v[8:9], v[44:45], v[8:9]
	v_add_f64 v[10:11], v[46:47], v[10:11]
	;; [unrolled: 1-line block ×3, first 2 shown]
	v_add_f64 v[22:23], v[28:29], -v[30:31]
	v_mul_f64 v[28:29], v[16:17], s[18:19]
	v_mul_f64 v[30:31], v[40:41], s[12:13]
	v_add_f64 v[0:1], v[20:21], v[14:15]
	v_mul_f64 v[40:41], v[42:43], s[4:5]
	v_add_f64 v[20:21], v[32:33], -v[34:35]
	v_mul_f64 v[32:33], v[4:5], s[18:19]
	v_fma_f64 v[34:35], v[36:37], s[22:23], v[18:19]
	v_fma_f64 v[16:17], v[16:17], s[18:19], v[24:25]
	;; [unrolled: 1-line block ×3, first 2 shown]
	v_fma_f64 v[36:37], v[36:37], s[24:25], -v[48:49]
	v_fma_f64 v[18:19], v[38:39], s[4:5], -v[18:19]
	v_fma_f64 v[12:13], v[12:13], s[14:15], v[2:3]
	v_fma_f64 v[24:25], v[22:23], s[20:21], -v[24:25]
	v_fma_f64 v[22:23], v[22:23], s[16:17], -v[28:29]
	v_fma_f64 v[28:29], v[6:7], s[22:23], v[30:31]
	v_fma_f64 v[14:15], v[14:15], s[14:15], v[0:1]
	v_fma_f64 v[6:7], v[6:7], s[24:25], -v[40:41]
	v_fma_f64 v[26:27], v[20:21], s[20:21], -v[26:27]
	v_fma_f64 v[30:31], v[42:43], s[4:5], -v[30:31]
	v_fma_f64 v[20:21], v[20:21], s[16:17], -v[32:33]
	v_fma_f64 v[32:33], v[8:9], s[26:27], v[34:35]
	v_fma_f64 v[34:35], v[8:9], s[26:27], v[36:37]
	;; [unrolled: 1-line block ×3, first 2 shown]
	v_add_f64 v[16:17], v[16:17], v[12:13]
	v_add_f64 v[24:25], v[24:25], v[12:13]
	;; [unrolled: 1-line block ×3, first 2 shown]
	v_fma_f64 v[28:29], v[10:11], s[26:27], v[28:29]
	v_add_f64 v[4:5], v[4:5], v[14:15]
	v_fma_f64 v[36:37], v[10:11], s[26:27], v[6:7]
	v_add_f64 v[38:39], v[26:27], v[14:15]
	;; [unrolled: 2-line block ×3, first 2 shown]
	v_add_f64 v[26:27], v[16:17], -v[32:33]
	v_add_f64 v[10:11], v[34:35], v[24:25]
	v_add_f64 v[22:23], v[24:25], -v[34:35]
	v_add_f64 v[6:7], v[32:33], v[16:17]
	v_add_f64 v[24:25], v[28:29], v[4:5]
	;; [unrolled: 1-line block ×4, first 2 shown]
	v_add_f64 v[14:15], v[12:13], -v[8:9]
	v_add_f64 v[16:17], v[40:41], -v[30:31]
	v_add_f64 v[12:13], v[30:31], v[40:41]
	v_add_f64 v[8:9], v[38:39], -v[36:37]
	v_add_f64 v[4:5], v[4:5], -v[28:29]
	v_lshl_add_u32 v28, v64, 4, 0
	ds_store_b128 v28, v[0:3] offset:17472
	ds_store_b128 v28, v[24:27] offset:18304
	;; [unrolled: 1-line block ×7, first 2 shown]
.LBB0_19:
	s_or_b32 exec_lo, exec_lo, s1
	v_mov_b32_e32 v77, 0
	s_waitcnt lgkmcnt(0)
	s_barrier
	buffer_gl0_inv
	s_add_u32 s1, s8, 0x5a30
	v_lshlrev_b64 v[8:9], 4, v[76:77]
	s_addc_u32 s4, s9, 0
	s_mov_b32 s5, exec_lo
	s_delay_alu instid0(VALU_DEP_1) | instskip(NEXT) | instid1(VALU_DEP_1)
	v_add_co_u32 v44, s0, s8, v8
	v_add_co_ci_u32_e64 v45, s0, s9, v9, s0
	s_delay_alu instid0(VALU_DEP_2) | instskip(NEXT) | instid1(VALU_DEP_1)
	v_add_co_u32 v0, s0, 0x1000, v44
	v_add_co_ci_u32_e64 v1, s0, 0, v45, s0
	v_add_co_u32 v34, s0, 0x2000, v44
	s_delay_alu instid0(VALU_DEP_1)
	v_add_co_ci_u32_e64 v35, s0, 0, v45, s0
	s_clause 0x1
	global_load_b128 v[0:3], v[0:1], off offset:1520
	global_load_b128 v[4:7], v[34:35], off offset:336
	ds_load_b128 v[10:13], v245 offset:11648
	ds_load_b128 v[14:17], v245 offset:14560
	;; [unrolled: 1-line block ×4, first 2 shown]
	s_waitcnt vmcnt(1) lgkmcnt(3)
	v_mul_f64 v[26:27], v[12:13], v[2:3]
	v_mul_f64 v[28:29], v[10:11], v[2:3]
	s_waitcnt vmcnt(0) lgkmcnt(2)
	v_mul_f64 v[30:31], v[16:17], v[6:7]
	v_mul_f64 v[32:33], v[14:15], v[6:7]
	s_waitcnt lgkmcnt(1)
	v_mul_f64 v[36:37], v[20:21], v[2:3]
	v_mul_f64 v[2:3], v[18:19], v[2:3]
	s_waitcnt lgkmcnt(0)
	v_mul_f64 v[38:39], v[24:25], v[6:7]
	v_mul_f64 v[6:7], v[22:23], v[6:7]
	v_fma_f64 v[26:27], v[10:11], v[0:1], v[26:27]
	v_fma_f64 v[28:29], v[12:13], v[0:1], -v[28:29]
	v_fma_f64 v[30:31], v[14:15], v[4:5], v[30:31]
	v_fma_f64 v[32:33], v[16:17], v[4:5], -v[32:33]
	;; [unrolled: 2-line block ×4, first 2 shown]
	ds_load_b128 v[0:3], v245
	ds_load_b128 v[4:7], v245 offset:2912
	ds_load_b128 v[10:13], v245 offset:5824
	;; [unrolled: 1-line block ×3, first 2 shown]
	s_waitcnt lgkmcnt(0)
	s_barrier
	buffer_gl0_inv
	v_add_f64 v[18:19], v[0:1], -v[26:27]
	v_add_f64 v[20:21], v[2:3], -v[28:29]
	v_add_f64 v[22:23], v[4:5], -v[30:31]
	v_add_f64 v[24:25], v[6:7], -v[32:33]
	v_add_f64 v[26:27], v[10:11], -v[36:37]
	v_add_f64 v[28:29], v[12:13], -v[40:41]
	v_add_f64 v[30:31], v[14:15], -v[38:39]
	v_add_f64 v[32:33], v[16:17], -v[42:43]
	v_add_co_u32 v36, s0, 0x3000, v44
	s_delay_alu instid0(VALU_DEP_1) | instskip(SKIP_1) | instid1(VALU_DEP_1)
	v_add_co_ci_u32_e64 v37, s0, 0, v45, s0
	v_add_co_u32 v38, s0, 0x4000, v44
	v_add_co_ci_u32_e64 v39, s0, 0, v45, s0
	v_fma_f64 v[0:1], v[0:1], 2.0, -v[18:19]
	v_fma_f64 v[2:3], v[2:3], 2.0, -v[20:21]
	;; [unrolled: 1-line block ×8, first 2 shown]
	ds_store_b128 v245, v[18:21] offset:5824
	ds_store_b128 v245, v[22:25] offset:8736
	;; [unrolled: 1-line block ×4, first 2 shown]
	ds_store_b128 v245, v[0:3]
	ds_store_b128 v245, v[4:7] offset:2912
	ds_store_b128 v245, v[10:13] offset:11648
	;; [unrolled: 1-line block ×3, first 2 shown]
	s_waitcnt lgkmcnt(0)
	s_barrier
	buffer_gl0_inv
	s_clause 0x3
	global_load_b128 v[0:3], v[34:35], off offset:3248
	global_load_b128 v[4:7], v[36:37], off offset:2064
	;; [unrolled: 1-line block ×4, first 2 shown]
	ds_load_b128 v[18:21], v245 offset:11648
	ds_load_b128 v[22:25], v245 offset:14560
	ds_load_b128 v[26:29], v245 offset:17472
	ds_load_b128 v[30:33], v245 offset:20384
	s_waitcnt vmcnt(3) lgkmcnt(3)
	v_mul_f64 v[34:35], v[20:21], v[2:3]
	v_mul_f64 v[2:3], v[18:19], v[2:3]
	s_waitcnt vmcnt(2) lgkmcnt(2)
	v_mul_f64 v[36:37], v[24:25], v[6:7]
	v_mul_f64 v[6:7], v[22:23], v[6:7]
	;; [unrolled: 3-line block ×4, first 2 shown]
	v_fma_f64 v[18:19], v[18:19], v[0:1], v[34:35]
	v_fma_f64 v[20:21], v[20:21], v[0:1], -v[2:3]
	v_fma_f64 v[22:23], v[22:23], v[4:5], v[36:37]
	v_fma_f64 v[24:25], v[24:25], v[4:5], -v[6:7]
	v_fma_f64 v[26:27], v[26:27], v[10:11], v[38:39]
	v_fma_f64 v[28:29], v[28:29], v[10:11], -v[12:13]
	v_fma_f64 v[30:31], v[30:31], v[14:15], v[40:41]
	v_fma_f64 v[32:33], v[32:33], v[14:15], -v[16:17]
	ds_load_b128 v[0:3], v245
	ds_load_b128 v[4:7], v245 offset:2912
	ds_load_b128 v[10:13], v245 offset:5824
	;; [unrolled: 1-line block ×3, first 2 shown]
	s_waitcnt lgkmcnt(0)
	s_barrier
	buffer_gl0_inv
	v_add_f64 v[18:19], v[0:1], -v[18:19]
	v_add_f64 v[20:21], v[2:3], -v[20:21]
	;; [unrolled: 1-line block ×8, first 2 shown]
	v_fma_f64 v[0:1], v[0:1], 2.0, -v[18:19]
	v_fma_f64 v[2:3], v[2:3], 2.0, -v[20:21]
	;; [unrolled: 1-line block ×8, first 2 shown]
	ds_store_b128 v245, v[18:21] offset:11648
	ds_store_b128 v245, v[22:25] offset:14560
	;; [unrolled: 1-line block ×4, first 2 shown]
	ds_store_b128 v245, v[0:3]
	ds_store_b128 v245, v[4:7] offset:2912
	ds_store_b128 v245, v[10:13] offset:5824
	;; [unrolled: 1-line block ×3, first 2 shown]
	v_lshlrev_b32_e32 v0, 4, v76
	s_waitcnt lgkmcnt(0)
	s_barrier
	buffer_gl0_inv
	ds_load_b128 v[4:7], v245
	v_sub_nc_u32_e32 v14, 0, v0
                                        ; implicit-def: $vgpr0_vgpr1
                                        ; implicit-def: $vgpr10_vgpr11
                                        ; implicit-def: $vgpr12_vgpr13
	v_cmpx_ne_u32_e32 0, v76
	s_xor_b32 s5, exec_lo, s5
	s_cbranch_execz .LBB0_21
; %bb.20:
	v_add_co_u32 v0, s0, s1, v8
	s_delay_alu instid0(VALU_DEP_1)
	v_add_co_ci_u32_e64 v1, s0, s4, v9, s0
	global_load_b128 v[15:18], v[0:1], off
	ds_load_b128 v[0:3], v14 offset:23296
	s_waitcnt lgkmcnt(0)
	v_add_f64 v[10:11], v[4:5], -v[0:1]
	v_add_f64 v[12:13], v[6:7], v[2:3]
	v_add_f64 v[2:3], v[6:7], -v[2:3]
	v_add_f64 v[0:1], v[4:5], v[0:1]
	s_delay_alu instid0(VALU_DEP_4) | instskip(NEXT) | instid1(VALU_DEP_4)
	v_mul_f64 v[6:7], v[10:11], 0.5
	v_mul_f64 v[4:5], v[12:13], 0.5
	s_delay_alu instid0(VALU_DEP_4) | instskip(SKIP_1) | instid1(VALU_DEP_3)
	v_mul_f64 v[2:3], v[2:3], 0.5
	s_waitcnt vmcnt(0)
	v_mul_f64 v[10:11], v[6:7], v[17:18]
	s_delay_alu instid0(VALU_DEP_2) | instskip(SKIP_1) | instid1(VALU_DEP_3)
	v_fma_f64 v[12:13], v[4:5], v[17:18], v[2:3]
	v_fma_f64 v[2:3], v[4:5], v[17:18], -v[2:3]
	v_fma_f64 v[19:20], v[0:1], 0.5, v[10:11]
	v_fma_f64 v[0:1], v[0:1], 0.5, -v[10:11]
	s_delay_alu instid0(VALU_DEP_4) | instskip(NEXT) | instid1(VALU_DEP_4)
	v_fma_f64 v[12:13], -v[15:16], v[6:7], v[12:13]
	v_fma_f64 v[2:3], -v[15:16], v[6:7], v[2:3]
	s_delay_alu instid0(VALU_DEP_4) | instskip(NEXT) | instid1(VALU_DEP_4)
	v_fma_f64 v[10:11], v[4:5], v[15:16], v[19:20]
	v_fma_f64 v[0:1], -v[4:5], v[15:16], v[0:1]
                                        ; implicit-def: $vgpr4_vgpr5
.LBB0_21:
	s_and_not1_saveexec_b32 s0, s5
	s_cbranch_execz .LBB0_23
; %bb.22:
	s_waitcnt lgkmcnt(0)
	v_add_f64 v[10:11], v[4:5], v[6:7]
	v_add_f64 v[0:1], v[4:5], -v[6:7]
	v_mov_b32_e32 v6, 0
	v_mov_b32_e32 v12, 0
	;; [unrolled: 1-line block ×3, first 2 shown]
	s_delay_alu instid0(VALU_DEP_2)
	v_mov_b32_e32 v2, v12
	ds_load_b64 v[4:5], v6 offset:11656
	v_mov_b32_e32 v3, v13
	s_waitcnt lgkmcnt(0)
	v_xor_b32_e32 v5, 0x80000000, v5
	ds_store_b64 v6, v[4:5] offset:11656
.LBB0_23:
	s_or_b32 exec_lo, exec_lo, s0
	v_add_co_u32 v19, s0, s1, v8
	s_delay_alu instid0(VALU_DEP_1) | instskip(NEXT) | instid1(VALU_DEP_2)
	v_add_co_ci_u32_e64 v20, s0, s4, v9, s0
	v_add_co_u32 v8, s0, 0x1000, v19
	s_waitcnt lgkmcnt(0)
	global_load_b128 v[4:7], v[19:20], off offset:2912
	v_add_co_ci_u32_e64 v9, s0, 0, v20, s0
	global_load_b128 v[15:18], v[8:9], off offset:1728
	ds_store_2addr_b64 v245, v[10:11], v[12:13] offset1:1
	ds_store_b128 v14, v[0:3] offset:23296
	ds_load_b128 v[0:3], v245 offset:2912
	ds_load_b128 v[8:11], v14 offset:20384
	s_waitcnt lgkmcnt(0)
	v_add_f64 v[12:13], v[0:1], -v[8:9]
	v_add_f64 v[21:22], v[2:3], v[10:11]
	v_add_f64 v[2:3], v[2:3], -v[10:11]
	v_add_f64 v[0:1], v[0:1], v[8:9]
	s_delay_alu instid0(VALU_DEP_4) | instskip(NEXT) | instid1(VALU_DEP_4)
	v_mul_f64 v[10:11], v[12:13], 0.5
	v_mul_f64 v[12:13], v[21:22], 0.5
	s_delay_alu instid0(VALU_DEP_4) | instskip(SKIP_1) | instid1(VALU_DEP_3)
	v_mul_f64 v[2:3], v[2:3], 0.5
	s_waitcnt vmcnt(1)
	v_mul_f64 v[8:9], v[10:11], v[6:7]
	s_delay_alu instid0(VALU_DEP_2) | instskip(SKIP_1) | instid1(VALU_DEP_3)
	v_fma_f64 v[21:22], v[12:13], v[6:7], v[2:3]
	v_fma_f64 v[2:3], v[12:13], v[6:7], -v[2:3]
	v_fma_f64 v[6:7], v[0:1], 0.5, v[8:9]
	v_fma_f64 v[0:1], v[0:1], 0.5, -v[8:9]
	s_delay_alu instid0(VALU_DEP_4) | instskip(NEXT) | instid1(VALU_DEP_4)
	v_fma_f64 v[8:9], -v[4:5], v[10:11], v[21:22]
	v_fma_f64 v[2:3], -v[4:5], v[10:11], v[2:3]
	s_delay_alu instid0(VALU_DEP_4) | instskip(NEXT) | instid1(VALU_DEP_4)
	v_fma_f64 v[10:11], v[12:13], v[4:5], v[6:7]
	v_fma_f64 v[0:1], -v[12:13], v[4:5], v[0:1]
	v_add_co_u32 v4, s0, 0x2000, v19
	s_delay_alu instid0(VALU_DEP_1)
	v_add_co_ci_u32_e64 v5, s0, 0, v20, s0
	v_add_nc_u32_e32 v12, 0x800, v245
	global_load_b128 v[4:7], v[4:5], off offset:544
	ds_store_2addr_b64 v12, v[10:11], v[8:9] offset0:108 offset1:109
	ds_store_b128 v14, v[0:3] offset:20384
	ds_load_b128 v[0:3], v245 offset:5824
	ds_load_b128 v[8:11], v14 offset:17472
	s_waitcnt lgkmcnt(0)
	v_add_f64 v[12:13], v[0:1], -v[8:9]
	v_add_f64 v[19:20], v[2:3], v[10:11]
	v_add_f64 v[2:3], v[2:3], -v[10:11]
	v_add_f64 v[0:1], v[0:1], v[8:9]
	s_delay_alu instid0(VALU_DEP_4) | instskip(NEXT) | instid1(VALU_DEP_4)
	v_mul_f64 v[10:11], v[12:13], 0.5
	v_mul_f64 v[12:13], v[19:20], 0.5
	s_delay_alu instid0(VALU_DEP_4) | instskip(SKIP_1) | instid1(VALU_DEP_3)
	v_mul_f64 v[2:3], v[2:3], 0.5
	s_waitcnt vmcnt(1)
	v_mul_f64 v[8:9], v[10:11], v[17:18]
	s_delay_alu instid0(VALU_DEP_2) | instskip(SKIP_1) | instid1(VALU_DEP_3)
	v_fma_f64 v[19:20], v[12:13], v[17:18], v[2:3]
	v_fma_f64 v[2:3], v[12:13], v[17:18], -v[2:3]
	v_fma_f64 v[17:18], v[0:1], 0.5, v[8:9]
	v_fma_f64 v[0:1], v[0:1], 0.5, -v[8:9]
	s_delay_alu instid0(VALU_DEP_4) | instskip(NEXT) | instid1(VALU_DEP_4)
	v_fma_f64 v[8:9], -v[15:16], v[10:11], v[19:20]
	v_fma_f64 v[2:3], -v[15:16], v[10:11], v[2:3]
	s_delay_alu instid0(VALU_DEP_4) | instskip(NEXT) | instid1(VALU_DEP_4)
	v_fma_f64 v[10:11], v[12:13], v[15:16], v[17:18]
	v_fma_f64 v[0:1], -v[12:13], v[15:16], v[0:1]
	v_add_nc_u32_e32 v12, 0x1000, v245
	ds_store_2addr_b64 v12, v[10:11], v[8:9] offset0:216 offset1:217
	ds_store_b128 v14, v[0:3] offset:17472
	ds_load_b128 v[0:3], v245 offset:8736
	ds_load_b128 v[8:11], v14 offset:14560
	s_waitcnt lgkmcnt(0)
	v_add_f64 v[12:13], v[0:1], -v[8:9]
	v_add_f64 v[15:16], v[2:3], v[10:11]
	v_add_f64 v[2:3], v[2:3], -v[10:11]
	v_add_f64 v[0:1], v[0:1], v[8:9]
	s_delay_alu instid0(VALU_DEP_4) | instskip(NEXT) | instid1(VALU_DEP_4)
	v_mul_f64 v[10:11], v[12:13], 0.5
	v_mul_f64 v[12:13], v[15:16], 0.5
	s_delay_alu instid0(VALU_DEP_4) | instskip(SKIP_1) | instid1(VALU_DEP_3)
	v_mul_f64 v[2:3], v[2:3], 0.5
	s_waitcnt vmcnt(0)
	v_mul_f64 v[8:9], v[10:11], v[6:7]
	s_delay_alu instid0(VALU_DEP_2) | instskip(SKIP_1) | instid1(VALU_DEP_3)
	v_fma_f64 v[15:16], v[12:13], v[6:7], v[2:3]
	v_fma_f64 v[2:3], v[12:13], v[6:7], -v[2:3]
	v_fma_f64 v[6:7], v[0:1], 0.5, v[8:9]
	v_fma_f64 v[0:1], v[0:1], 0.5, -v[8:9]
	s_delay_alu instid0(VALU_DEP_4) | instskip(NEXT) | instid1(VALU_DEP_4)
	v_fma_f64 v[8:9], -v[4:5], v[10:11], v[15:16]
	v_fma_f64 v[2:3], -v[4:5], v[10:11], v[2:3]
	s_delay_alu instid0(VALU_DEP_4) | instskip(NEXT) | instid1(VALU_DEP_4)
	v_fma_f64 v[6:7], v[12:13], v[4:5], v[6:7]
	v_fma_f64 v[0:1], -v[12:13], v[4:5], v[0:1]
	v_add_nc_u32_e32 v4, 0x2000, v245
	ds_store_2addr_b64 v4, v[6:7], v[8:9] offset0:68 offset1:69
	ds_store_b128 v14, v[0:3] offset:14560
	s_waitcnt lgkmcnt(0)
	s_barrier
	buffer_gl0_inv
	s_and_saveexec_b32 s0, vcc_lo
	s_cbranch_execz .LBB0_26
; %bb.24:
	v_mul_lo_u32 v2, s3, v74
	v_mul_lo_u32 v3, s2, v75
	v_mad_u64_u32 v[0:1], null, s2, v74, 0
	v_dual_mov_b32 v77, 0 :: v_dual_add_nc_u32 v12, 0xb6, v76
	v_lshlrev_b64 v[10:11], 4, v[72:73]
	v_lshl_add_u32 v28, v76, 4, 0
	s_delay_alu instid0(VALU_DEP_3)
	v_dual_mov_b32 v13, v77 :: v_dual_add_nc_u32 v14, 0x16c, v76
	v_add3_u32 v1, v1, v3, v2
	v_lshlrev_b64 v[16:17], 4, v[76:77]
	v_dual_mov_b32 v15, v77 :: v_dual_add_nc_u32 v24, 0x222, v76
	ds_load_b128 v[2:5], v28
	ds_load_b128 v[6:9], v28 offset:2912
	v_lshlrev_b64 v[0:1], 4, v[0:1]
	v_lshlrev_b64 v[18:19], 4, v[12:13]
	;; [unrolled: 1-line block ×3, first 2 shown]
	v_dual_mov_b32 v25, v77 :: v_dual_add_nc_u32 v26, 0x2d8, v76
	v_mov_b32_e32 v27, v77
	v_add_co_u32 v0, vcc_lo, s6, v0
	v_add_co_ci_u32_e32 v1, vcc_lo, s7, v1, vcc_lo
	s_delay_alu instid0(VALU_DEP_4) | instskip(NEXT) | instid1(VALU_DEP_3)
	v_lshlrev_b64 v[24:25], 4, v[24:25]
	v_add_co_u32 v0, vcc_lo, v0, v10
	s_delay_alu instid0(VALU_DEP_3) | instskip(NEXT) | instid1(VALU_DEP_2)
	v_add_co_ci_u32_e32 v1, vcc_lo, v1, v11, vcc_lo
	v_add_co_u32 v22, vcc_lo, v0, v16
	s_delay_alu instid0(VALU_DEP_2)
	v_add_co_ci_u32_e32 v23, vcc_lo, v1, v17, vcc_lo
	ds_load_b128 v[10:13], v28 offset:5824
	ds_load_b128 v[14:17], v28 offset:8736
	v_add_co_u32 v18, vcc_lo, v0, v18
	v_add_co_ci_u32_e32 v19, vcc_lo, v1, v19, vcc_lo
	v_add_co_u32 v20, vcc_lo, v0, v20
	v_add_co_ci_u32_e32 v21, vcc_lo, v1, v21, vcc_lo
	;; [unrolled: 2-line block ×3, first 2 shown]
	s_waitcnt lgkmcnt(3)
	global_store_b128 v[22:23], v[2:5], off
	s_waitcnt lgkmcnt(2)
	global_store_b128 v[18:19], v[6:9], off
	;; [unrolled: 2-line block ×4, first 2 shown]
	v_add_nc_u32_e32 v10, 0x38e, v76
	v_lshlrev_b64 v[2:3], 4, v[26:27]
	v_dual_mov_b32 v11, v77 :: v_dual_add_nc_u32 v12, 0x444, v76
	v_dual_mov_b32 v13, v77 :: v_dual_add_nc_u32 v24, 0x4fa, v76
	v_mov_b32_e32 v25, v77
	s_delay_alu instid0(VALU_DEP_4)
	v_add_co_u32 v18, vcc_lo, v0, v2
	v_add_co_ci_u32_e32 v19, vcc_lo, v1, v3, vcc_lo
	ds_load_b128 v[2:5], v28 offset:11648
	ds_load_b128 v[6:9], v28 offset:14560
	v_lshlrev_b64 v[20:21], 4, v[10:11]
	v_lshlrev_b64 v[22:23], 4, v[12:13]
	ds_load_b128 v[10:13], v28 offset:17472
	ds_load_b128 v[14:17], v28 offset:20384
	v_lshlrev_b64 v[24:25], 4, v[24:25]
	v_add_co_u32 v20, vcc_lo, v0, v20
	v_add_co_ci_u32_e32 v21, vcc_lo, v1, v21, vcc_lo
	v_add_co_u32 v22, vcc_lo, v0, v22
	v_add_co_ci_u32_e32 v23, vcc_lo, v1, v23, vcc_lo
	;; [unrolled: 2-line block ×3, first 2 shown]
	v_cmp_eq_u32_e32 vcc_lo, 0xb5, v76
	s_waitcnt lgkmcnt(3)
	global_store_b128 v[18:19], v[2:5], off
	s_waitcnt lgkmcnt(2)
	global_store_b128 v[20:21], v[6:9], off
	;; [unrolled: 2-line block ×4, first 2 shown]
	s_and_b32 exec_lo, exec_lo, vcc_lo
	s_cbranch_execz .LBB0_26
; %bb.25:
	ds_load_b128 v[2:5], v77 offset:23296
	v_add_co_u32 v0, vcc_lo, 0x5000, v0
	v_add_co_ci_u32_e32 v1, vcc_lo, 0, v1, vcc_lo
	s_waitcnt lgkmcnt(0)
	global_store_b128 v[0:1], v[2:5], off offset:2816
.LBB0_26:
	s_nop 0
	s_sendmsg sendmsg(MSG_DEALLOC_VGPRS)
	s_endpgm
	.section	.rodata,"a",@progbits
	.p2align	6, 0x0
	.amdhsa_kernel fft_rtc_back_len1456_factors_13_4_7_2_2_wgs_182_tpt_182_halfLds_dp_op_CI_CI_unitstride_sbrr_R2C_dirReg
		.amdhsa_group_segment_fixed_size 0
		.amdhsa_private_segment_fixed_size 28
		.amdhsa_kernarg_size 104
		.amdhsa_user_sgpr_count 15
		.amdhsa_user_sgpr_dispatch_ptr 0
		.amdhsa_user_sgpr_queue_ptr 0
		.amdhsa_user_sgpr_kernarg_segment_ptr 1
		.amdhsa_user_sgpr_dispatch_id 0
		.amdhsa_user_sgpr_private_segment_size 0
		.amdhsa_wavefront_size32 1
		.amdhsa_uses_dynamic_stack 0
		.amdhsa_enable_private_segment 1
		.amdhsa_system_sgpr_workgroup_id_x 1
		.amdhsa_system_sgpr_workgroup_id_y 0
		.amdhsa_system_sgpr_workgroup_id_z 0
		.amdhsa_system_sgpr_workgroup_info 0
		.amdhsa_system_vgpr_workitem_id 0
		.amdhsa_next_free_vgpr 256
		.amdhsa_next_free_sgpr 46
		.amdhsa_reserve_vcc 1
		.amdhsa_float_round_mode_32 0
		.amdhsa_float_round_mode_16_64 0
		.amdhsa_float_denorm_mode_32 3
		.amdhsa_float_denorm_mode_16_64 3
		.amdhsa_dx10_clamp 1
		.amdhsa_ieee_mode 1
		.amdhsa_fp16_overflow 0
		.amdhsa_workgroup_processor_mode 1
		.amdhsa_memory_ordered 1
		.amdhsa_forward_progress 0
		.amdhsa_shared_vgpr_count 0
		.amdhsa_exception_fp_ieee_invalid_op 0
		.amdhsa_exception_fp_denorm_src 0
		.amdhsa_exception_fp_ieee_div_zero 0
		.amdhsa_exception_fp_ieee_overflow 0
		.amdhsa_exception_fp_ieee_underflow 0
		.amdhsa_exception_fp_ieee_inexact 0
		.amdhsa_exception_int_div_zero 0
	.end_amdhsa_kernel
	.text
.Lfunc_end0:
	.size	fft_rtc_back_len1456_factors_13_4_7_2_2_wgs_182_tpt_182_halfLds_dp_op_CI_CI_unitstride_sbrr_R2C_dirReg, .Lfunc_end0-fft_rtc_back_len1456_factors_13_4_7_2_2_wgs_182_tpt_182_halfLds_dp_op_CI_CI_unitstride_sbrr_R2C_dirReg
                                        ; -- End function
	.section	.AMDGPU.csdata,"",@progbits
; Kernel info:
; codeLenInByte = 12108
; NumSgprs: 48
; NumVgprs: 256
; ScratchSize: 28
; MemoryBound: 0
; FloatMode: 240
; IeeeMode: 1
; LDSByteSize: 0 bytes/workgroup (compile time only)
; SGPRBlocks: 5
; VGPRBlocks: 31
; NumSGPRsForWavesPerEU: 48
; NumVGPRsForWavesPerEU: 256
; Occupancy: 5
; WaveLimiterHint : 1
; COMPUTE_PGM_RSRC2:SCRATCH_EN: 1
; COMPUTE_PGM_RSRC2:USER_SGPR: 15
; COMPUTE_PGM_RSRC2:TRAP_HANDLER: 0
; COMPUTE_PGM_RSRC2:TGID_X_EN: 1
; COMPUTE_PGM_RSRC2:TGID_Y_EN: 0
; COMPUTE_PGM_RSRC2:TGID_Z_EN: 0
; COMPUTE_PGM_RSRC2:TIDIG_COMP_CNT: 0
	.text
	.p2alignl 7, 3214868480
	.fill 96, 4, 3214868480
	.type	__hip_cuid_90cb5d62528f4e33,@object ; @__hip_cuid_90cb5d62528f4e33
	.section	.bss,"aw",@nobits
	.globl	__hip_cuid_90cb5d62528f4e33
__hip_cuid_90cb5d62528f4e33:
	.byte	0                               ; 0x0
	.size	__hip_cuid_90cb5d62528f4e33, 1

	.ident	"AMD clang version 19.0.0git (https://github.com/RadeonOpenCompute/llvm-project roc-6.4.0 25133 c7fe45cf4b819c5991fe208aaa96edf142730f1d)"
	.section	".note.GNU-stack","",@progbits
	.addrsig
	.addrsig_sym __hip_cuid_90cb5d62528f4e33
	.amdgpu_metadata
---
amdhsa.kernels:
  - .args:
      - .actual_access:  read_only
        .address_space:  global
        .offset:         0
        .size:           8
        .value_kind:     global_buffer
      - .offset:         8
        .size:           8
        .value_kind:     by_value
      - .actual_access:  read_only
        .address_space:  global
        .offset:         16
        .size:           8
        .value_kind:     global_buffer
      - .actual_access:  read_only
        .address_space:  global
        .offset:         24
        .size:           8
        .value_kind:     global_buffer
      - .actual_access:  read_only
        .address_space:  global
        .offset:         32
        .size:           8
        .value_kind:     global_buffer
      - .offset:         40
        .size:           8
        .value_kind:     by_value
      - .actual_access:  read_only
        .address_space:  global
        .offset:         48
        .size:           8
        .value_kind:     global_buffer
      - .actual_access:  read_only
        .address_space:  global
        .offset:         56
        .size:           8
        .value_kind:     global_buffer
      - .offset:         64
        .size:           4
        .value_kind:     by_value
      - .actual_access:  read_only
        .address_space:  global
        .offset:         72
        .size:           8
        .value_kind:     global_buffer
      - .actual_access:  read_only
        .address_space:  global
        .offset:         80
        .size:           8
        .value_kind:     global_buffer
      - .actual_access:  read_only
        .address_space:  global
        .offset:         88
        .size:           8
        .value_kind:     global_buffer
      - .actual_access:  write_only
        .address_space:  global
        .offset:         96
        .size:           8
        .value_kind:     global_buffer
    .group_segment_fixed_size: 0
    .kernarg_segment_align: 8
    .kernarg_segment_size: 104
    .language:       OpenCL C
    .language_version:
      - 2
      - 0
    .max_flat_workgroup_size: 182
    .name:           fft_rtc_back_len1456_factors_13_4_7_2_2_wgs_182_tpt_182_halfLds_dp_op_CI_CI_unitstride_sbrr_R2C_dirReg
    .private_segment_fixed_size: 28
    .sgpr_count:     48
    .sgpr_spill_count: 0
    .symbol:         fft_rtc_back_len1456_factors_13_4_7_2_2_wgs_182_tpt_182_halfLds_dp_op_CI_CI_unitstride_sbrr_R2C_dirReg.kd
    .uniform_work_group_size: 1
    .uses_dynamic_stack: false
    .vgpr_count:     256
    .vgpr_spill_count: 6
    .wavefront_size: 32
    .workgroup_processor_mode: 1
amdhsa.target:   amdgcn-amd-amdhsa--gfx1100
amdhsa.version:
  - 1
  - 2
...

	.end_amdgpu_metadata
